;; amdgpu-corpus repo=ROCm/rocFFT kind=compiled arch=gfx906 opt=O3
	.text
	.amdgcn_target "amdgcn-amd-amdhsa--gfx906"
	.amdhsa_code_object_version 6
	.protected	bluestein_single_back_len2197_dim1_sp_op_CI_CI ; -- Begin function bluestein_single_back_len2197_dim1_sp_op_CI_CI
	.globl	bluestein_single_back_len2197_dim1_sp_op_CI_CI
	.p2align	8
	.type	bluestein_single_back_len2197_dim1_sp_op_CI_CI,@function
bluestein_single_back_len2197_dim1_sp_op_CI_CI: ; @bluestein_single_back_len2197_dim1_sp_op_CI_CI
; %bb.0:
	s_load_dwordx4 s[12:15], s[4:5], 0x28
	v_mul_u32_u24_e32 v1, 0x184, v0
	v_add_u32_sdwa v56, s6, v1 dst_sel:DWORD dst_unused:UNUSED_PAD src0_sel:DWORD src1_sel:WORD_1
	v_mov_b32_e32 v57, 0
	s_waitcnt lgkmcnt(0)
	v_cmp_gt_u64_e32 vcc, s[12:13], v[56:57]
	s_and_saveexec_b64 s[0:1], vcc
	s_cbranch_execz .LBB0_2
; %bb.1:
	s_load_dwordx4 s[0:3], s[4:5], 0x18
	s_load_dwordx4 s[8:11], s[4:5], 0x0
	s_movk_i32 s6, 0x1000
	s_mov_b32 s7, 0x3f62ad3f
	s_mov_b32 s12, 0xbf3f9e67
	s_waitcnt lgkmcnt(0)
	s_load_dwordx4 s[16:19], s[0:1], 0x0
	s_movk_i32 s0, 0xa9
	v_mul_lo_u16_sdwa v1, v1, s0 dst_sel:DWORD dst_unused:UNUSED_PAD src0_sel:WORD_1 src1_sel:DWORD
	v_sub_u16_e32 v76, v0, v1
	v_lshlrev_b32_e32 v75, 3, v76
	s_waitcnt lgkmcnt(0)
	v_mad_u64_u32 v[0:1], s[0:1], s18, v56, 0
	v_mad_u64_u32 v[2:3], s[0:1], s16, v76, 0
	v_add_u32_e32 v81, 0x800, v75
	v_add_u32_e32 v80, 0x1400, v75
	v_mad_u64_u32 v[4:5], s[0:1], s19, v56, v[1:2]
	v_add_u32_e32 v79, 0x1e00, v75
	v_add_u32_e32 v78, 0x2800, v75
	v_mad_u64_u32 v[5:6], s[0:1], s17, v76, v[3:4]
	v_mov_b32_e32 v1, v4
	v_lshlrev_b64 v[0:1], 3, v[0:1]
	v_mov_b32_e32 v6, s15
	v_mov_b32_e32 v3, v5
	v_add_co_u32_e32 v4, vcc, s14, v0
	v_addc_co_u32_e32 v5, vcc, v6, v1, vcc
	v_lshlrev_b64 v[0:1], 3, v[2:3]
	s_mul_i32 s0, s17, 0x548
	v_add_co_u32_e32 v0, vcc, v4, v0
	v_addc_co_u32_e32 v1, vcc, v5, v1, vcc
	v_mov_b32_e32 v4, s9
	v_add_co_u32_e32 v84, vcc, s8, v75
	s_mul_hi_u32 s1, s16, 0x548
	v_addc_co_u32_e32 v85, vcc, 0, v4, vcc
	s_add_i32 s0, s1, s0
	s_mul_i32 s1, s16, 0x548
	global_load_dwordx2 v[2:3], v[0:1], off
	v_mov_b32_e32 v4, s0
	v_add_co_u32_e32 v0, vcc, s1, v0
	v_addc_co_u32_e32 v1, vcc, v1, v4, vcc
	v_mov_b32_e32 v5, s0
	v_add_co_u32_e32 v4, vcc, s1, v0
	v_addc_co_u32_e32 v5, vcc, v1, v5, vcc
	;; [unrolled: 3-line block ×4, first 2 shown]
	global_load_dwordx2 v[73:74], v75, s[8:9]
	global_load_dwordx2 v[71:72], v75, s[8:9] offset:1352
	global_load_dwordx2 v[67:68], v75, s[8:9] offset:2704
	;; [unrolled: 1-line block ×3, first 2 shown]
	global_load_dwordx2 v[10:11], v[0:1], off
	global_load_dwordx2 v[12:13], v[4:5], off
	global_load_dwordx2 v[14:15], v[6:7], off
	global_load_dwordx2 v[16:17], v[8:9], off
	v_add_co_u32_e32 v0, vcc, s6, v84
	v_addc_co_u32_e32 v1, vcc, 0, v85, vcc
	v_mov_b32_e32 v5, s0
	v_add_co_u32_e32 v4, vcc, s1, v8
	v_addc_co_u32_e32 v5, vcc, v9, v5, vcc
	global_load_dwordx2 v[6:7], v[4:5], off
	v_mov_b32_e32 v8, s0
	v_add_co_u32_e32 v4, vcc, s1, v4
	v_addc_co_u32_e32 v5, vcc, v5, v8, vcc
	global_load_dwordx2 v[8:9], v[4:5], off
	global_load_dwordx2 v[69:70], v[0:1], off offset:1312
	global_load_dwordx2 v[63:64], v[0:1], off offset:2664
	;; [unrolled: 1-line block ×3, first 2 shown]
	v_mov_b32_e32 v1, s0
	v_add_co_u32_e32 v0, vcc, s1, v4
	v_addc_co_u32_e32 v1, vcc, v5, v1, vcc
	s_movk_i32 s6, 0x2000
	v_add_co_u32_e32 v18, vcc, s6, v84
	v_addc_co_u32_e32 v19, vcc, 0, v85, vcc
	global_load_dwordx2 v[4:5], v[0:1], off
	v_mov_b32_e32 v20, s0
	v_add_co_u32_e32 v0, vcc, s1, v0
	v_addc_co_u32_e32 v1, vcc, v1, v20, vcc
	global_load_dwordx2 v[20:21], v[0:1], off
	v_mov_b32_e32 v22, s0
	v_add_co_u32_e32 v0, vcc, s1, v0
	v_addc_co_u32_e32 v1, vcc, v1, v22, vcc
	global_load_dwordx2 v[22:23], v[0:1], off
	global_load_dwordx2 v[65:66], v[18:19], off offset:1272
	global_load_dwordx2 v[59:60], v[18:19], off offset:2624
	;; [unrolled: 1-line block ×3, first 2 shown]
	v_mov_b32_e32 v18, s0
	v_add_co_u32_e32 v0, vcc, s1, v0
	v_addc_co_u32_e32 v1, vcc, v1, v18, vcc
	s_movk_i32 s6, 0x3000
	v_add_co_u32_e32 v24, vcc, s6, v84
	v_addc_co_u32_e32 v25, vcc, 0, v85, vcc
	global_load_dwordx2 v[18:19], v[0:1], off
	v_mov_b32_e32 v26, s0
	v_add_co_u32_e32 v0, vcc, s1, v0
	v_addc_co_u32_e32 v1, vcc, v1, v26, vcc
	global_load_dwordx2 v[52:53], v[24:25], off offset:1232
	global_load_dwordx2 v[26:27], v[0:1], off
	global_load_dwordx2 v[50:51], v[24:25], off offset:2584
	v_mov_b32_e32 v28, s0
	v_add_co_u32_e32 v0, vcc, s1, v0
	v_addc_co_u32_e32 v1, vcc, v1, v28, vcc
	global_load_dwordx2 v[28:29], v[0:1], off
	global_load_dwordx2 v[48:49], v[24:25], off offset:3936
	v_add_u32_e32 v77, 0x3400, v75
	s_load_dwordx4 s[0:3], s[2:3], 0x0
	s_mov_b32 s6, 0x3f116cb1
	s_mov_b32 s8, 0x3df6dbef
	;; [unrolled: 1-line block ×4, first 2 shown]
	s_movk_i32 s14, 0x4f
	s_waitcnt vmcnt(24)
	v_mul_f32_e32 v0, v3, v74
	v_mul_f32_e32 v1, v2, v74
	v_fmac_f32_e32 v0, v2, v73
	v_fma_f32 v1, v3, v73, -v1
	s_waitcnt vmcnt(20)
	v_mul_f32_e32 v2, v11, v72
	v_mul_f32_e32 v3, v10, v72
	v_fmac_f32_e32 v2, v10, v71
	v_fma_f32 v3, v11, v71, -v3
	ds_write2_b64 v75, v[0:1], v[2:3] offset1:169
	s_waitcnt vmcnt(19)
	v_mul_f32_e32 v0, v13, v68
	v_mul_f32_e32 v1, v12, v68
	s_waitcnt vmcnt(18)
	v_mul_f32_e32 v2, v15, v62
	v_mul_f32_e32 v3, v14, v62
	v_fmac_f32_e32 v0, v12, v67
	v_fma_f32 v1, v13, v67, -v1
	v_fmac_f32_e32 v2, v14, v61
	v_fma_f32 v3, v15, v61, -v3
	ds_write2_b64 v81, v[0:1], v[2:3] offset0:82 offset1:251
	s_waitcnt vmcnt(14)
	v_mul_f32_e32 v0, v17, v70
	v_mul_f32_e32 v1, v16, v70
	s_waitcnt vmcnt(13)
	v_mul_f32_e32 v2, v7, v64
	v_mul_f32_e32 v3, v6, v64
	v_fmac_f32_e32 v0, v16, v69
	v_fma_f32 v1, v17, v69, -v1
	v_fmac_f32_e32 v2, v6, v63
	v_fma_f32 v3, v7, v63, -v3
	ds_write2_b64 v80, v[0:1], v[2:3] offset0:36 offset1:205
	s_waitcnt vmcnt(12)
	v_mul_f32_e32 v0, v9, v58
	v_mul_f32_e32 v1, v8, v58
	v_fmac_f32_e32 v0, v8, v57
	v_fma_f32 v1, v9, v57, -v1
	s_waitcnt vmcnt(8)
	v_mul_f32_e32 v2, v5, v66
	v_mul_f32_e32 v3, v4, v66
	v_fmac_f32_e32 v2, v4, v65
	v_fma_f32 v3, v5, v65, -v3
	ds_write2_b64 v79, v[0:1], v[2:3] offset0:54 offset1:223
	s_waitcnt vmcnt(7)
	v_mul_f32_e32 v0, v21, v60
	v_mul_f32_e32 v1, v20, v60
	s_waitcnt vmcnt(6)
	v_mul_f32_e32 v2, v23, v55
	v_mul_f32_e32 v3, v22, v55
	v_fmac_f32_e32 v0, v20, v59
	v_fma_f32 v1, v21, v59, -v1
	v_fmac_f32_e32 v2, v22, v54
	v_fma_f32 v3, v23, v54, -v3
	ds_write2_b64 v78, v[0:1], v[2:3] offset0:72 offset1:241
	s_waitcnt vmcnt(4)
	v_mul_f32_e32 v0, v19, v53
	v_mul_f32_e32 v1, v18, v53
	s_waitcnt vmcnt(2)
	v_mul_f32_e32 v2, v27, v51
	v_mul_f32_e32 v3, v26, v51
	v_fmac_f32_e32 v0, v18, v52
	v_fma_f32 v1, v19, v52, -v1
	v_fmac_f32_e32 v2, v26, v50
	v_fma_f32 v3, v27, v50, -v3
	ds_write2_b64 v77, v[0:1], v[2:3] offset0:26 offset1:195
	s_waitcnt vmcnt(0)
	v_mul_f32_e32 v0, v29, v49
	v_mul_f32_e32 v1, v28, v49
	v_fmac_f32_e32 v0, v28, v48
	v_fma_f32 v1, v29, v48, -v1
	ds_write_b64 v75, v[0:1] offset:16224
	s_waitcnt lgkmcnt(0)
	s_barrier
	ds_read2_b64 v[4:7], v75 offset1:169
	ds_read2_b64 v[8:11], v81 offset0:82 offset1:251
	ds_read2_b64 v[12:15], v80 offset0:36 offset1:205
	;; [unrolled: 1-line block ×5, first 2 shown]
	ds_read_b64 v[24:25], v75 offset:16224
	s_waitcnt lgkmcnt(6)
	v_add_f32_e32 v26, v4, v6
	v_add_f32_e32 v27, v5, v7
	s_waitcnt lgkmcnt(5)
	v_add_f32_e32 v26, v26, v8
	v_add_f32_e32 v27, v27, v9
	v_add_f32_e32 v26, v26, v10
	v_add_f32_e32 v27, v27, v11
	s_waitcnt lgkmcnt(4)
	v_add_f32_e32 v26, v26, v12
	v_add_f32_e32 v27, v27, v13
	;; [unrolled: 5-line block ×4, first 2 shown]
	v_add_f32_e32 v26, v26, v18
	v_add_f32_e32 v27, v27, v19
	s_waitcnt lgkmcnt(1)
	v_add_f32_e32 v26, v26, v20
	s_waitcnt lgkmcnt(0)
	v_add_f32_e32 v29, v25, v7
	v_sub_f32_e32 v7, v7, v25
	v_add_f32_e32 v27, v27, v21
	v_add_f32_e32 v26, v26, v22
	;; [unrolled: 1-line block ×3, first 2 shown]
	v_sub_f32_e32 v6, v6, v24
	v_mul_f32_e32 v30, 0xbeedf032, v7
	v_mul_f32_e32 v32, 0xbf52af12, v7
	v_add_f32_e32 v34, v22, v8
	v_sub_f32_e32 v8, v8, v22
	v_add_f32_e32 v22, v20, v10
	v_sub_f32_e32 v10, v10, v20
	v_mul_f32_e32 v20, 0xbf7e222b, v7
	v_mul_f32_e32 v36, 0xbf6f5d39, v7
	v_mul_f32_e32 v38, 0xbf29c268, v7
	v_mul_f32_e32 v7, 0xbe750f2a, v7
	v_add_f32_e32 v27, v27, v23
	v_fma_f32 v31, v28, s7, -v30
	v_fmac_f32_e32 v30, 0x3f62ad3f, v28
	v_fma_f32 v33, v28, s6, -v32
	v_fmac_f32_e32 v32, 0x3f116cb1, v28
	v_add_f32_e32 v35, v23, v9
	v_sub_f32_e32 v9, v9, v23
	v_add_f32_e32 v23, v21, v11
	v_sub_f32_e32 v11, v11, v21
	v_fma_f32 v21, v28, s8, -v20
	v_fmac_f32_e32 v20, 0x3df6dbef, v28
	v_fma_f32 v37, v28, s9, -v36
	v_fmac_f32_e32 v36, 0xbeb58ec6, v28
	;; [unrolled: 2-line block ×4, first 2 shown]
	v_mul_f32_e32 v28, 0xbeedf032, v6
	v_mul_f32_e32 v42, 0xbf52af12, v6
	;; [unrolled: 1-line block ×6, first 2 shown]
	v_mov_b32_e32 v86, v6
	v_fma_f32 v41, v29, s7, -v28
	v_fmac_f32_e32 v28, 0x3f62ad3f, v29
	v_fma_f32 v43, v29, s6, -v42
	v_fmac_f32_e32 v42, 0x3f116cb1, v29
	;; [unrolled: 2-line block ×5, first 2 shown]
	v_fmac_f32_e32 v86, 0xbf788fa5, v29
	v_fma_f32 v6, v29, s13, -v6
	v_add_f32_e32 v29, v4, v31
	v_add_f32_e32 v30, v4, v30
	;; [unrolled: 1-line block ×13, first 2 shown]
	v_mul_f32_e32 v26, 0xbf52af12, v8
	v_add_f32_e32 v28, v5, v28
	v_add_f32_e32 v31, v5, v41
	;; [unrolled: 1-line block ×13, first 2 shown]
	v_mul_f32_e32 v24, 0xbf52af12, v9
	v_fma_f32 v27, v35, s6, -v26
	v_fmac_f32_e32 v26, 0x3f116cb1, v35
	v_fma_f32 v25, v34, s6, -v24
	v_add_f32_e32 v26, v26, v28
	v_mul_f32_e32 v28, 0xbf6f5d39, v9
	v_add_f32_e32 v25, v25, v29
	v_fma_f32 v29, v34, s9, -v28
	v_fmac_f32_e32 v28, 0xbeb58ec6, v34
	v_fmac_f32_e32 v24, 0x3f116cb1, v34
	v_add_f32_e32 v28, v28, v32
	v_mul_f32_e32 v32, 0xbe750f2a, v9
	v_add_f32_e32 v24, v24, v30
	v_add_f32_e32 v29, v29, v33
	v_mul_f32_e32 v30, 0xbf6f5d39, v8
	v_fma_f32 v33, v34, s13, -v32
	v_add_f32_e32 v27, v27, v31
	v_fma_f32 v31, v35, s9, -v30
	v_fmac_f32_e32 v30, 0xbeb58ec6, v35
	v_add_f32_e32 v21, v33, v21
	v_mul_f32_e32 v33, 0xbe750f2a, v8
	v_add_f32_e32 v30, v30, v41
	v_fma_f32 v41, v35, s13, -v33
	v_fmac_f32_e32 v32, 0xbf788fa5, v34
	v_add_f32_e32 v20, v32, v20
	v_add_f32_e32 v32, v41, v44
	v_mul_f32_e32 v41, 0x3f29c268, v9
	v_add_f32_e32 v31, v31, v42
	v_fma_f32 v42, v34, s12, -v41
	v_fmac_f32_e32 v33, 0xbf788fa5, v35
	v_add_f32_e32 v37, v42, v37
	v_mul_f32_e32 v42, 0x3f29c268, v8
	v_add_f32_e32 v33, v33, v43
	v_fma_f32 v43, v35, s12, -v42
	v_fmac_f32_e32 v41, 0xbf3f9e67, v34
	v_add_f32_e32 v36, v41, v36
	v_add_f32_e32 v41, v43, v46
	v_mul_f32_e32 v43, 0x3f7e222b, v9
	v_fma_f32 v44, v34, s8, -v43
	v_fmac_f32_e32 v42, 0xbf3f9e67, v35
	v_add_f32_e32 v39, v44, v39
	v_mul_f32_e32 v44, 0x3f7e222b, v8
	v_add_f32_e32 v42, v42, v45
	v_fma_f32 v45, v35, s8, -v44
	v_fmac_f32_e32 v43, 0x3df6dbef, v34
	v_mul_f32_e32 v9, 0x3eedf032, v9
	v_add_f32_e32 v38, v43, v38
	v_add_f32_e32 v43, v45, v82
	v_fma_f32 v45, v34, s7, -v9
	v_mul_f32_e32 v8, 0x3eedf032, v8
	v_add_f32_e32 v40, v45, v40
	v_mov_b32_e32 v45, v8
	v_fma_f32 v8, v35, s7, -v8
	v_fmac_f32_e32 v9, 0x3f62ad3f, v34
	v_add_f32_e32 v6, v8, v6
	v_mul_f32_e32 v8, 0xbf7e222b, v11
	v_add_f32_e32 v7, v9, v7
	v_fma_f32 v9, v22, s8, -v8
	v_add_f32_e32 v9, v9, v25
	v_mul_f32_e32 v25, 0xbf7e222b, v10
	v_fma_f32 v34, v23, s8, -v25
	v_fmac_f32_e32 v25, 0x3df6dbef, v23
	v_add_f32_e32 v25, v25, v26
	v_fmac_f32_e32 v8, 0x3df6dbef, v22
	v_mul_f32_e32 v26, 0xbe750f2a, v11
	v_add_f32_e32 v8, v8, v24
	v_add_f32_e32 v24, v34, v27
	v_fma_f32 v27, v22, s13, -v26
	v_add_f32_e32 v27, v27, v29
	v_mul_f32_e32 v29, 0xbe750f2a, v10
	v_fma_f32 v34, v23, s13, -v29
	v_fmac_f32_e32 v29, 0xbf788fa5, v23
	v_add_f32_e32 v29, v29, v30
	v_fmac_f32_e32 v26, 0xbf788fa5, v22
	v_mul_f32_e32 v30, 0x3f6f5d39, v11
	v_add_f32_e32 v26, v26, v28
	v_add_f32_e32 v28, v34, v31
	v_fma_f32 v31, v22, s9, -v30
	v_add_f32_e32 v21, v31, v21
	v_mul_f32_e32 v31, 0x3f6f5d39, v10
	v_fma_f32 v34, v23, s9, -v31
	v_fmac_f32_e32 v30, 0xbeb58ec6, v22
	v_fmac_f32_e32 v31, 0xbeb58ec6, v23
	v_add_f32_e32 v20, v30, v20
	v_add_f32_e32 v30, v34, v32
	v_mul_f32_e32 v32, 0x3eedf032, v11
	v_add_f32_e32 v31, v31, v33
	v_fma_f32 v33, v22, s7, -v32
	v_fmac_f32_e32 v32, 0x3f62ad3f, v22
	v_add_f32_e32 v32, v32, v36
	v_mul_f32_e32 v36, 0xbf52af12, v11
	v_add_f32_e32 v33, v33, v37
	v_mul_f32_e32 v34, 0x3eedf032, v10
	v_fma_f32 v37, v22, s6, -v36
	v_fmac_f32_e32 v44, 0x3df6dbef, v35
	v_fmac_f32_e32 v45, 0x3f62ad3f, v35
	v_fma_f32 v35, v23, s7, -v34
	v_add_f32_e32 v37, v37, v39
	v_mul_f32_e32 v39, 0xbf52af12, v10
	v_add_f32_e32 v35, v35, v41
	v_fma_f32 v41, v23, s6, -v39
	v_fmac_f32_e32 v36, 0x3f116cb1, v22
	v_mul_f32_e32 v11, 0xbf29c268, v11
	v_add_f32_e32 v36, v36, v38
	v_add_f32_e32 v38, v41, v43
	v_fma_f32 v41, v22, s12, -v11
	v_mul_f32_e32 v10, 0xbf29c268, v10
	v_fmac_f32_e32 v11, 0xbf3f9e67, v22
	v_add_f32_e32 v40, v41, v40
	v_mov_b32_e32 v41, v10
	v_add_f32_e32 v7, v11, v7
	v_fma_f32 v10, v23, s12, -v10
	v_add_f32_e32 v11, v19, v13
	v_sub_f32_e32 v13, v13, v19
	v_add_f32_e32 v6, v10, v6
	v_add_f32_e32 v10, v18, v12
	v_mul_f32_e32 v19, 0xbf6f5d39, v13
	v_sub_f32_e32 v12, v12, v18
	v_fma_f32 v22, v10, s9, -v19
	v_mul_f32_e32 v18, 0xbf6f5d39, v12
	v_add_f32_e32 v9, v22, v9
	v_fma_f32 v22, v11, s9, -v18
	v_fmac_f32_e32 v19, 0xbeb58ec6, v10
	v_add_f32_e32 v8, v19, v8
	v_add_f32_e32 v19, v22, v24
	v_mul_f32_e32 v22, 0x3f29c268, v13
	v_fmac_f32_e32 v34, 0x3f62ad3f, v23
	v_fmac_f32_e32 v39, 0x3f116cb1, v23
	v_fmac_f32_e32 v41, 0xbf3f9e67, v23
	v_fma_f32 v23, v10, s12, -v22
	v_fmac_f32_e32 v22, 0xbf3f9e67, v10
	v_add_f32_e32 v22, v22, v26
	v_mul_f32_e32 v26, 0x3eedf032, v13
	v_fmac_f32_e32 v18, 0xbeb58ec6, v11
	v_add_f32_e32 v23, v23, v27
	v_mul_f32_e32 v24, 0x3f29c268, v12
	v_fma_f32 v27, v10, s7, -v26
	v_add_f32_e32 v18, v18, v25
	v_fma_f32 v25, v11, s12, -v24
	v_add_f32_e32 v21, v27, v21
	v_mul_f32_e32 v27, 0x3eedf032, v12
	v_add_f32_e32 v25, v25, v28
	v_fma_f32 v28, v11, s7, -v27
	v_fmac_f32_e32 v26, 0x3f62ad3f, v10
	v_fmac_f32_e32 v24, 0xbf3f9e67, v11
	v_add_f32_e32 v20, v26, v20
	v_add_f32_e32 v26, v28, v30
	v_mul_f32_e32 v28, 0xbf7e222b, v13
	v_add_f32_e32 v24, v24, v29
	v_fma_f32 v29, v10, s8, -v28
	v_fmac_f32_e32 v28, 0x3df6dbef, v10
	v_fmac_f32_e32 v27, 0x3f62ad3f, v11
	v_mul_f32_e32 v30, 0xbf7e222b, v12
	v_add_f32_e32 v28, v28, v32
	v_mul_f32_e32 v32, 0x3e750f2a, v13
	v_add_f32_e32 v34, v34, v42
	v_add_f32_e32 v27, v27, v31
	;; [unrolled: 1-line block ×3, first 2 shown]
	v_fma_f32 v31, v11, s8, -v30
	v_fmac_f32_e32 v30, 0x3df6dbef, v11
	v_fma_f32 v33, v10, s13, -v32
	v_fmac_f32_e32 v32, 0xbf788fa5, v10
	v_mul_f32_e32 v13, 0x3f52af12, v13
	v_add_f32_e32 v30, v30, v34
	v_mul_f32_e32 v34, 0x3e750f2a, v12
	v_add_f32_e32 v32, v32, v36
	v_fma_f32 v36, v10, s6, -v13
	v_mul_f32_e32 v12, 0x3f52af12, v12
	v_fmac_f32_e32 v13, 0x3f116cb1, v10
	v_add_f32_e32 v7, v13, v7
	v_fma_f32 v10, v11, s6, -v12
	v_sub_f32_e32 v13, v15, v17
	v_add_f32_e32 v33, v33, v37
	v_mov_b32_e32 v37, v12
	v_add_f32_e32 v6, v10, v6
	v_add_f32_e32 v10, v16, v14
	v_sub_f32_e32 v12, v14, v16
	v_mul_f32_e32 v14, 0xbf29c268, v13
	v_add_f32_e32 v31, v31, v35
	v_fma_f32 v35, v11, s13, -v34
	v_fmac_f32_e32 v34, 0xbf788fa5, v11
	v_fmac_f32_e32 v37, 0x3f116cb1, v11
	v_add_f32_e32 v11, v17, v15
	v_fma_f32 v15, v10, s12, -v14
	v_add_f32_e32 v9, v15, v9
	v_mul_f32_e32 v15, 0xbf29c268, v12
	v_fma_f32 v16, v11, s12, -v15
	v_fmac_f32_e32 v14, 0xbf3f9e67, v10
	v_add_f32_e32 v8, v14, v8
	v_add_f32_e32 v14, v16, v19
	v_mul_f32_e32 v16, 0x3f7e222b, v13
	v_fma_f32 v17, v10, s8, -v16
	v_fmac_f32_e32 v16, 0x3df6dbef, v10
	v_fmac_f32_e32 v15, 0xbf3f9e67, v11
	v_add_f32_e32 v16, v16, v22
	v_mul_f32_e32 v22, 0xbf52af12, v13
	v_add_f32_e32 v15, v15, v18
	v_add_f32_e32 v17, v17, v23
	v_mul_f32_e32 v18, 0x3f7e222b, v12
	v_fma_f32 v23, v10, s6, -v22
	v_fma_f32 v19, v11, s8, -v18
	v_fmac_f32_e32 v18, 0x3df6dbef, v11
	v_add_f32_e32 v21, v23, v21
	v_mul_f32_e32 v23, 0xbf52af12, v12
	v_add_f32_e32 v18, v18, v24
	v_fma_f32 v24, v11, s6, -v23
	v_fmac_f32_e32 v22, 0x3f116cb1, v10
	v_add_f32_e32 v20, v22, v20
	v_add_f32_e32 v22, v24, v26
	v_mul_f32_e32 v24, 0x3e750f2a, v13
	v_add_f32_e32 v19, v19, v25
	v_fma_f32 v25, v10, s13, -v24
	v_fmac_f32_e32 v24, 0xbf788fa5, v10
	v_add_f32_e32 v44, v44, v47
	v_add_f32_e32 v24, v24, v28
	v_mul_f32_e32 v28, 0x3eedf032, v13
	v_add_f32_e32 v39, v39, v44
	v_fmac_f32_e32 v23, 0x3f116cb1, v11
	v_add_f32_e32 v25, v25, v29
	v_mul_f32_e32 v26, 0x3e750f2a, v12
	v_fma_f32 v29, v10, s7, -v28
	v_fmac_f32_e32 v28, 0x3f62ad3f, v10
	v_mul_f32_e32 v13, 0xbf6f5d39, v13
	v_add_f32_e32 v34, v34, v39
	v_add_f32_e32 v36, v36, v40
	;; [unrolled: 1-line block ×3, first 2 shown]
	v_fma_f32 v27, v11, s13, -v26
	v_fmac_f32_e32 v26, 0xbf788fa5, v11
	v_add_f32_e32 v28, v28, v32
	v_fma_f32 v32, v10, s9, -v13
	v_sub_f32_e32 v39, v1, v3
	v_add_f32_e32 v45, v45, v83
	v_add_f32_e32 v35, v35, v38
	;; [unrolled: 1-line block ×3, first 2 shown]
	v_mul_f32_e32 v30, 0x3eedf032, v12
	v_add_f32_e32 v32, v32, v36
	v_mul_f32_e32 v12, 0xbf6f5d39, v12
	v_add_f32_e32 v36, v2, v0
	v_sub_f32_e32 v38, v0, v2
	v_mul_f32_e32 v2, 0xbe750f2a, v39
	v_add_f32_e32 v41, v41, v45
	v_add_f32_e32 v27, v27, v31
	;; [unrolled: 1-line block ×3, first 2 shown]
	v_fma_f32 v31, v11, s7, -v30
	v_fmac_f32_e32 v30, 0x3f62ad3f, v11
	v_mov_b32_e32 v33, v12
	v_fmac_f32_e32 v13, 0xbeb58ec6, v10
	v_fma_f32 v0, v36, s13, -v2
	v_fmac_f32_e32 v2, 0xbf788fa5, v36
	v_add_f32_e32 v37, v37, v41
	v_add_f32_e32 v30, v30, v34
	v_fmac_f32_e32 v33, 0xbeb58ec6, v11
	v_add_f32_e32 v34, v13, v7
	v_fma_f32 v7, v11, s9, -v12
	v_add_f32_e32 v2, v2, v8
	v_mul_f32_e32 v8, 0x3eedf032, v39
	v_add_f32_e32 v31, v31, v35
	v_add_f32_e32 v33, v33, v37
	;; [unrolled: 1-line block ×4, first 2 shown]
	v_mul_f32_e32 v1, 0xbe750f2a, v38
	v_fma_f32 v6, v36, s7, -v8
	v_fmac_f32_e32 v8, 0x3f62ad3f, v36
	v_fma_f32 v3, v37, s13, -v1
	v_fmac_f32_e32 v1, 0xbf788fa5, v37
	v_add_f32_e32 v8, v8, v16
	v_mul_f32_e32 v16, 0x3f52af12, v39
	v_add_f32_e32 v1, v1, v15
	v_add_f32_e32 v3, v3, v14
	v_mul_f32_e32 v7, 0x3eedf032, v38
	v_mul_f32_e32 v12, 0xbf29c268, v39
	;; [unrolled: 1-line block ×3, first 2 shown]
	v_fma_f32 v14, v36, s6, -v16
	v_mul_f32_e32 v15, 0x3f52af12, v38
	v_add_f32_e32 v0, v0, v9
	v_add_f32_e32 v6, v6, v17
	v_fma_f32 v9, v37, s7, -v7
	v_fma_f32 v10, v36, s12, -v12
	;; [unrolled: 1-line block ×3, first 2 shown]
	v_fmac_f32_e32 v11, 0xbf3f9e67, v37
	v_fmac_f32_e32 v12, 0xbf3f9e67, v36
	v_add_f32_e32 v14, v14, v25
	v_fma_f32 v17, v37, s6, -v15
	v_fmac_f32_e32 v15, 0x3f116cb1, v37
	v_fmac_f32_e32 v16, 0x3f116cb1, v36
	v_mul_f32_e32 v25, 0x3f7e222b, v38
	v_fmac_f32_e32 v7, 0x3f62ad3f, v37
	v_add_f32_e32 v9, v9, v19
	v_add_f32_e32 v11, v11, v23
	v_add_f32_e32 v12, v12, v20
	v_add_f32_e32 v15, v15, v26
	v_add_f32_e32 v16, v16, v24
	v_mul_f32_e32 v20, 0xbf6f5d39, v39
	v_mul_f32_e32 v19, 0xbf6f5d39, v38
	;; [unrolled: 1-line block ×3, first 2 shown]
	v_mov_b32_e32 v23, v25
	v_mul_lo_u16_e32 v26, 13, v76
	v_add_f32_e32 v7, v7, v18
	v_add_f32_e32 v10, v10, v21
	v_add_f32_e32 v13, v13, v22
	v_fma_f32 v18, v36, s9, -v20
	v_fma_f32 v21, v37, s9, -v19
	v_fmac_f32_e32 v19, 0xbeb58ec6, v37
	v_fmac_f32_e32 v20, 0xbeb58ec6, v36
	v_fma_f32 v22, v36, s8, -v24
	v_fmac_f32_e32 v23, 0x3df6dbef, v37
	v_fmac_f32_e32 v24, 0x3df6dbef, v36
	v_fma_f32 v25, v37, s8, -v25
	v_lshlrev_b32_e32 v83, 3, v26
	v_add_f32_e32 v17, v17, v27
	v_add_f32_e32 v18, v18, v29
	;; [unrolled: 1-line block ×9, first 2 shown]
	s_barrier
	ds_write2_b64 v83, v[4:5], v[0:1] offset1:1
	ds_write2_b64 v83, v[6:7], v[10:11] offset0:2 offset1:3
	ds_write2_b64 v83, v[14:15], v[18:19] offset0:4 offset1:5
	;; [unrolled: 1-line block ×5, first 2 shown]
	ds_write_b64 v83, v[2:3] offset:96
	v_mul_lo_u16_sdwa v0, v76, s14 dst_sel:DWORD dst_unused:UNUSED_PAD src0_sel:BYTE_0 src1_sel:DWORD
	v_lshrrev_b16_e32 v16, 10, v0
	v_mul_lo_u16_e32 v0, 13, v16
	v_sub_u16_e32 v0, v76, v0
	v_and_b32_e32 v17, 0xff, v0
	v_mul_u32_u24_e32 v0, 12, v17
	v_lshlrev_b32_e32 v18, 3, v0
	s_waitcnt lgkmcnt(0)
	s_barrier
	global_load_dwordx4 v[0:3], v18, s[10:11]
	global_load_dwordx4 v[4:7], v18, s[10:11] offset:16
	global_load_dwordx4 v[8:11], v18, s[10:11] offset:32
	;; [unrolled: 1-line block ×5, first 2 shown]
	ds_read2_b64 v[18:21], v81 offset0:82 offset1:251
	ds_read2_b64 v[22:25], v80 offset0:36 offset1:205
	ds_read2_b64 v[26:29], v79 offset0:54 offset1:223
	v_mul_u32_u24_e32 v16, 0xa9, v16
	s_movk_i32 s14, 0x60
	s_waitcnt vmcnt(5) lgkmcnt(2)
	v_mul_f32_e32 v30, v19, v3
	v_fma_f32 v40, v18, v2, -v30
	v_mul_f32_e32 v41, v18, v3
	s_waitcnt vmcnt(4)
	v_mul_f32_e32 v18, v21, v5
	v_fma_f32 v42, v20, v4, -v18
	s_waitcnt lgkmcnt(1)
	v_mul_f32_e32 v18, v23, v7
	v_fma_f32 v95, v22, v6, -v18
	s_waitcnt vmcnt(3)
	v_mul_f32_e32 v18, v25, v9
	v_mul_f32_e32 v43, v20, v5
	v_fma_f32 v97, v24, v8, -v18
	s_waitcnt lgkmcnt(0)
	v_mul_f32_e32 v18, v27, v11
	v_fmac_f32_e32 v41, v19, v2
	v_fmac_f32_e32 v43, v21, v4
	v_fma_f32 v90, v26, v10, -v18
	ds_read2_b64 v[18:21], v78 offset0:72 offset1:241
	v_mul_f32_e32 v96, v22, v7
	s_waitcnt vmcnt(2)
	v_mul_f32_e32 v22, v29, v13
	v_mul_f32_e32 v98, v24, v9
	v_fma_f32 v92, v28, v12, -v22
	s_waitcnt lgkmcnt(0)
	v_mul_f32_e32 v22, v19, v15
	v_fmac_f32_e32 v96, v23, v6
	v_fmac_f32_e32 v98, v25, v8
	v_fma_f32 v99, v18, v14, -v22
	ds_read2_b64 v[22:25], v77 offset0:26 offset1:195
	v_mul_f32_e32 v82, v26, v11
	v_mul_f32_e32 v100, v18, v15
	s_waitcnt vmcnt(1)
	v_mul_f32_e32 v18, v21, v33
	v_fmac_f32_e32 v82, v27, v10
	v_fma_f32 v101, v20, v32, -v18
	v_mul_f32_e32 v102, v20, v33
	s_waitcnt lgkmcnt(0)
	v_mul_f32_e32 v18, v23, v35
	ds_read_b64 v[26:27], v75 offset:16224
	v_fmac_f32_e32 v100, v19, v14
	v_fmac_f32_e32 v102, v21, v32
	v_fma_f32 v103, v22, v34, -v18
	v_mul_f32_e32 v104, v22, v35
	ds_read2_b64 v[19:22], v75 offset1:169
	s_waitcnt vmcnt(0)
	v_mul_f32_e32 v18, v25, v45
	v_mul_f32_e32 v91, v28, v13
	v_fma_f32 v28, v24, v44, -v18
	s_waitcnt lgkmcnt(1)
	v_mul_f32_e32 v18, v27, v47
	v_fma_f32 v86, v26, v46, -v18
	s_waitcnt lgkmcnt(0)
	v_mul_f32_e32 v18, v22, v1
	v_mul_f32_e32 v88, v26, v47
	v_fma_f32 v18, v21, v0, -v18
	v_mul_f32_e32 v21, v21, v1
	v_fmac_f32_e32 v88, v27, v46
	v_fmac_f32_e32 v21, v22, v0
	;; [unrolled: 1-line block ×3, first 2 shown]
	v_sub_f32_e32 v23, v21, v88
	v_sub_f32_e32 v36, v18, v86
	v_fmac_f32_e32 v91, v29, v12
	v_mul_f32_e32 v29, v24, v45
	v_add_f32_e32 v22, v18, v86
	v_mul_f32_e32 v24, 0xbeedf032, v23
	v_mul_f32_e32 v26, 0xbf52af12, v23
	;; [unrolled: 1-line block ×12, first 2 shown]
	v_fmac_f32_e32 v29, v25, v44
	v_fma_f32 v25, v22, s7, -v24
	v_fmac_f32_e32 v24, 0x3f62ad3f, v22
	v_fma_f32 v27, v22, s6, -v26
	;; [unrolled: 2-line block ×6, first 2 shown]
	v_fmac_f32_e32 v105, 0xbf788fa5, v22
	v_add_f32_e32 v22, v21, v88
	v_mov_b32_e32 v114, v36
	v_add_f32_e32 v21, v20, v21
	v_fma_f32 v39, v22, s7, -v37
	v_fmac_f32_e32 v37, 0x3f62ad3f, v22
	v_fma_f32 v107, v22, s6, -v106
	v_fmac_f32_e32 v106, 0x3f116cb1, v22
	;; [unrolled: 2-line block ×5, first 2 shown]
	v_fmac_f32_e32 v114, 0xbf788fa5, v22
	v_fma_f32 v115, v22, s13, -v36
	v_add_f32_e32 v116, v19, v18
	v_add_f32_e32 v21, v21, v41
	;; [unrolled: 1-line block ×42, first 2 shown]
	v_sub_f32_e32 v29, v41, v29
	v_add_f32_e32 v38, v19, v24
	v_add_f32_e32 v24, v19, v93
	;; [unrolled: 1-line block ×4, first 2 shown]
	v_mul_f32_e32 v86, 0xbf52af12, v29
	v_sub_f32_e32 v28, v40, v28
	v_fma_f32 v40, v20, s6, -v86
	v_add_f32_e32 v30, v19, v30
	v_add_f32_e32 v23, v19, v23
	;; [unrolled: 1-line block ×4, first 2 shown]
	v_mul_f32_e32 v40, 0xbf52af12, v28
	v_fma_f32 v88, v21, s6, -v40
	v_fmac_f32_e32 v40, 0x3f116cb1, v21
	v_add_f32_e32 v41, v43, v104
	v_sub_f32_e32 v43, v43, v104
	v_add_f32_e32 v111, v40, v118
	v_add_f32_e32 v40, v42, v103
	v_sub_f32_e32 v42, v42, v103
	v_mul_f32_e32 v103, 0xbf7e222b, v43
	v_fma_f32 v104, v40, s8, -v103
	v_add_f32_e32 v104, v104, v105
	v_mul_f32_e32 v105, 0xbf7e222b, v42
	v_fma_f32 v112, v41, s8, -v105
	v_fmac_f32_e32 v105, 0x3df6dbef, v41
	v_add_f32_e32 v105, v105, v111
	v_add_f32_e32 v111, v95, v101
	v_sub_f32_e32 v95, v95, v101
	v_add_f32_e32 v101, v96, v102
	v_sub_f32_e32 v96, v96, v102
	v_mul_f32_e32 v102, 0xbf6f5d39, v96
	v_fma_f32 v113, v111, s9, -v102
	v_add_f32_e32 v104, v113, v104
	v_mul_f32_e32 v113, 0xbf6f5d39, v95
	v_fma_f32 v114, v101, s9, -v113
	v_fmac_f32_e32 v113, 0xbeb58ec6, v101
	v_add_f32_e32 v105, v113, v105
	v_add_f32_e32 v113, v97, v99
	v_sub_f32_e32 v97, v97, v99
	v_add_f32_e32 v99, v98, v100
	v_sub_f32_e32 v98, v98, v100
	v_mul_f32_e32 v100, 0xbf29c268, v98
	v_fma_f32 v115, v113, s12, -v100
	v_add_f32_e32 v104, v115, v104
	v_mul_f32_e32 v115, 0xbf29c268, v97
	v_fma_f32 v116, v99, s12, -v115
	v_fmac_f32_e32 v115, 0xbf3f9e67, v99
	v_sub_f32_e32 v118, v82, v91
	v_add_f32_e32 v105, v115, v105
	v_add_f32_e32 v115, v90, v92
	v_mul_f32_e32 v120, 0xbe750f2a, v118
	v_sub_f32_e32 v92, v90, v92
	v_add_f32_e32 v117, v82, v91
	v_fma_f32 v82, v115, s13, -v120
	v_add_f32_e32 v90, v82, v104
	v_mul_f32_e32 v82, 0xbe750f2a, v92
	v_fma_f32 v104, v117, s13, -v82
	v_fmac_f32_e32 v82, 0xbf788fa5, v117
	v_add_f32_e32 v91, v82, v105
	v_add_lshl_u32 v82, v16, v17, 3
	s_barrier
	ds_write2_b64 v82, v[93:94], v[90:91] offset1:13
	v_mul_f32_e32 v93, 0xbf6f5d39, v29
	v_fma_f32 v16, v20, s9, -v93
	v_mul_f32_e32 v105, 0xbe750f2a, v43
	v_add_f32_e32 v16, v16, v119
	v_mul_f32_e32 v17, 0xbf6f5d39, v28
	v_fma_f32 v90, v40, s13, -v105
	v_fma_f32 v94, v21, s9, -v17
	v_fmac_f32_e32 v17, 0xbeb58ec6, v21
	v_add_f32_e32 v16, v90, v16
	v_mul_f32_e32 v90, 0xbe750f2a, v42
	v_add_f32_e32 v17, v17, v106
	v_fma_f32 v106, v41, s13, -v90
	v_fmac_f32_e32 v90, 0xbf788fa5, v41
	v_mul_f32_e32 v119, 0x3f29c268, v96
	v_add_f32_e32 v17, v90, v17
	v_fma_f32 v90, v111, s12, -v119
	v_add_f32_e32 v16, v90, v16
	v_mul_f32_e32 v90, 0x3f29c268, v95
	v_fma_f32 v121, v101, s12, -v90
	v_fmac_f32_e32 v90, 0xbf3f9e67, v101
	v_mul_f32_e32 v122, 0x3f7e222b, v98
	v_add_f32_e32 v17, v90, v17
	v_fma_f32 v90, v113, s8, -v122
	v_add_f32_e32 v16, v90, v16
	v_mul_f32_e32 v90, 0x3f7e222b, v97
	;; [unrolled: 7-line block ×3, first 2 shown]
	v_fma_f32 v125, v117, s7, -v90
	v_fmac_f32_e32 v90, 0x3f62ad3f, v117
	v_mul_f32_e32 v126, 0xbe750f2a, v29
	v_add_f32_e32 v17, v90, v17
	v_fma_f32 v90, v20, s13, -v126
	v_mul_f32_e32 v91, 0xbe750f2a, v28
	v_add_f32_e32 v90, v90, v107
	v_fma_f32 v107, v21, s13, -v91
	v_fmac_f32_e32 v91, 0xbf788fa5, v21
	v_add_f32_e32 v91, v91, v108
	v_mul_f32_e32 v108, 0x3f6f5d39, v43
	v_fma_f32 v127, v40, s9, -v108
	v_add_f32_e32 v90, v127, v90
	v_mul_f32_e32 v127, 0x3f6f5d39, v42
	v_fma_f32 v128, v41, s9, -v127
	v_fmac_f32_e32 v127, 0xbeb58ec6, v41
	v_add_f32_e32 v91, v127, v91
	v_mul_f32_e32 v127, 0x3eedf032, v96
	v_fma_f32 v129, v111, s7, -v127
	v_add_f32_e32 v90, v129, v90
	v_mul_f32_e32 v129, 0x3eedf032, v95
	;; [unrolled: 7-line block ×4, first 2 shown]
	v_fma_f32 v134, v117, s12, -v133
	v_fmac_f32_e32 v133, 0xbf3f9e67, v117
	v_add_f32_e32 v91, v133, v91
	ds_write2_b64 v82, v[16:17], v[90:91] offset0:26 offset1:39
	v_mul_f32_e32 v91, 0x3f29c268, v29
	v_fma_f32 v16, v20, s12, -v91
	v_mul_f32_e32 v17, 0x3f29c268, v28
	v_add_f32_e32 v16, v16, v109
	v_fma_f32 v109, v21, s12, -v17
	v_fmac_f32_e32 v17, 0xbf3f9e67, v21
	v_add_f32_e32 v17, v17, v110
	v_mul_f32_e32 v110, 0x3eedf032, v43
	v_fma_f32 v90, v40, s7, -v110
	v_add_f32_e32 v16, v90, v16
	v_mul_f32_e32 v90, 0x3eedf032, v42
	v_fma_f32 v133, v41, s7, -v90
	v_fmac_f32_e32 v90, 0x3f62ad3f, v41
	v_mul_f32_e32 v135, 0xbf7e222b, v96
	v_add_f32_e32 v17, v90, v17
	v_fma_f32 v90, v111, s8, -v135
	v_add_f32_e32 v16, v90, v16
	v_mul_f32_e32 v90, 0xbf7e222b, v95
	v_fma_f32 v136, v101, s8, -v90
	v_fmac_f32_e32 v90, 0x3df6dbef, v101
	v_mul_f32_e32 v137, 0x3e750f2a, v98
	v_add_f32_e32 v17, v90, v17
	;; [unrolled: 7-line block ×8, first 2 shown]
	v_fma_f32 v90, v115, s9, -v149
	v_add_f32_e32 v89, v90, v89
	v_mul_f32_e32 v90, 0xbf6f5d39, v92
	v_fma_f32 v150, v117, s9, -v90
	v_fmac_f32_e32 v90, 0xbeb58ec6, v117
	v_add_f32_e32 v90, v90, v87
	v_fmac_f32_e32 v86, 0x3f116cb1, v20
	v_mul_f32_e32 v29, 0x3eedf032, v29
	ds_write2_b64 v82, v[16:17], v[89:90] offset0:52 offset1:65
	v_add_f32_e32 v16, v86, v38
	v_fma_f32 v38, v20, s7, -v29
	v_mul_f32_e32 v28, 0x3eedf032, v28
	v_add_f32_e32 v23, v38, v23
	v_mov_b32_e32 v38, v28
	v_fmac_f32_e32 v38, 0x3f62ad3f, v21
	v_add_f32_e32 v22, v38, v22
	v_mul_f32_e32 v38, 0xbf29c268, v43
	v_add_f32_e32 v17, v88, v39
	v_fma_f32 v39, v40, s12, -v38
	v_add_f32_e32 v23, v39, v23
	v_mul_f32_e32 v39, 0xbf29c268, v42
	v_mov_b32_e32 v42, v39
	v_fmac_f32_e32 v42, 0xbf3f9e67, v41
	v_add_f32_e32 v22, v42, v22
	v_mul_f32_e32 v42, 0x3f52af12, v96
	v_fma_f32 v43, v111, s6, -v42
	v_add_f32_e32 v23, v43, v23
	v_mul_f32_e32 v43, 0x3f52af12, v95
	v_mov_b32_e32 v86, v43
	v_fmac_f32_e32 v86, 0x3f116cb1, v101
	v_add_f32_e32 v22, v86, v22
	v_mul_f32_e32 v86, 0xbf6f5d39, v98
	v_fma_f32 v87, v113, s9, -v86
	v_add_f32_e32 v23, v87, v23
	v_mul_f32_e32 v87, 0xbf6f5d39, v97
	v_fmac_f32_e32 v29, 0x3f62ad3f, v20
	v_fmac_f32_e32 v93, 0xbeb58ec6, v20
	;; [unrolled: 1-line block ×5, first 2 shown]
	v_mov_b32_e32 v88, v87
	v_add_f32_e32 v19, v29, v19
	v_fma_f32 v20, v21, s7, -v28
	v_fmac_f32_e32 v38, 0xbf3f9e67, v40
	v_fmac_f32_e32 v103, 0x3df6dbef, v40
	;; [unrolled: 1-line block ×3, first 2 shown]
	v_mul_f32_e32 v89, 0x3f7e222b, v118
	v_add_f32_e32 v18, v20, v18
	v_add_f32_e32 v19, v38, v19
	v_fma_f32 v20, v41, s12, -v39
	v_fmac_f32_e32 v42, 0x3f116cb1, v111
	v_add_f32_e32 v16, v103, v16
	v_add_f32_e32 v17, v112, v17
	v_fmac_f32_e32 v102, 0xbeb58ec6, v111
	v_add_f32_e32 v36, v93, v36
	v_add_f32_e32 v37, v94, v37
	;; [unrolled: 3-line block ×5, first 2 shown]
	v_fmac_f32_e32 v143, 0x3f116cb1, v40
	v_add_f32_e32 v88, v88, v22
	v_fma_f32 v22, v115, s8, -v89
	v_mul_f32_e32 v90, 0x3f7e222b, v92
	v_add_f32_e32 v18, v20, v18
	v_add_f32_e32 v19, v42, v19
	v_fma_f32 v20, v101, s6, -v43
	v_fmac_f32_e32 v86, 0xbeb58ec6, v113
	v_add_f32_e32 v16, v102, v16
	v_add_f32_e32 v17, v114, v17
	v_fmac_f32_e32 v100, 0xbf3f9e67, v113
	v_add_f32_e32 v36, v105, v36
	v_add_f32_e32 v37, v106, v37
	;; [unrolled: 3-line block ×5, first 2 shown]
	v_fmac_f32_e32 v145, 0xbf788fa5, v111
	v_add_f32_e32 v22, v22, v23
	v_mov_b32_e32 v23, v90
	v_add_f32_e32 v18, v20, v18
	v_add_f32_e32 v19, v86, v19
	v_fma_f32 v20, v99, s9, -v87
	v_fmac_f32_e32 v89, 0x3df6dbef, v115
	v_add_f32_e32 v16, v100, v16
	v_add_f32_e32 v17, v116, v17
	v_fmac_f32_e32 v120, 0xbf788fa5, v115
	v_add_f32_e32 v36, v119, v36
	v_add_f32_e32 v37, v121, v37
	;; [unrolled: 3-line block ×5, first 2 shown]
	v_fmac_f32_e32 v147, 0x3f62ad3f, v113
	v_fmac_f32_e32 v23, 0x3df6dbef, v117
	v_add_f32_e32 v20, v20, v18
	v_add_f32_e32 v18, v89, v19
	v_fma_f32 v19, v117, s8, -v90
	v_add_f32_e32 v16, v120, v16
	v_add_f32_e32 v17, v104, v17
	;; [unrolled: 1-line block ×4, first 2 shown]
	v_fmac_f32_e32 v124, 0x3f62ad3f, v115
	v_add_f32_e32 v30, v129, v30
	v_add_f32_e32 v31, v132, v31
	v_fmac_f32_e32 v131, 0xbf3f9e67, v115
	v_add_f32_e32 v26, v137, v26
	v_add_f32_e32 v27, v138, v27
	;; [unrolled: 3-line block ×4, first 2 shown]
	v_add_f32_e32 v36, v124, v36
	v_add_f32_e32 v37, v125, v37
	;; [unrolled: 1-line block ×8, first 2 shown]
	ds_write2_b64 v82, v[22:23], v[18:19] offset0:78 offset1:91
	ds_write2_b64 v82, v[24:25], v[26:27] offset0:104 offset1:117
	;; [unrolled: 1-line block ×3, first 2 shown]
	ds_write_b64 v82, v[16:17] offset:1248
	v_mov_b32_e32 v17, s11
	v_mov_b32_e32 v16, s10
	v_mad_u64_u32 v[86:87], s[10:11], v76, s14, v[16:17]
	s_waitcnt lgkmcnt(0)
	s_barrier
	global_load_dwordx4 v[20:23], v[86:87], off offset:1248
	global_load_dwordx4 v[16:19], v[86:87], off offset:1264
	;; [unrolled: 1-line block ×6, first 2 shown]
	ds_read2_b64 v[86:89], v81 offset0:82 offset1:251
	s_movk_i32 s10, 0x4000
	s_waitcnt vmcnt(5) lgkmcnt(0)
	v_mul_f32_e32 v90, v87, v23
	v_fma_f32 v101, v86, v22, -v90
	ds_read2_b64 v[90:93], v80 offset0:36 offset1:205
	v_mul_f32_e32 v102, v86, v23
	s_waitcnt vmcnt(4)
	v_mul_f32_e32 v86, v89, v17
	v_fma_f32 v103, v88, v16, -v86
	v_mul_f32_e32 v112, v88, v17
	s_waitcnt lgkmcnt(0)
	v_mul_f32_e32 v86, v91, v19
	v_fmac_f32_e32 v102, v87, v22
	v_fmac_f32_e32 v112, v89, v16
	v_fma_f32 v114, v90, v18, -v86
	ds_read2_b64 v[86:89], v79 offset0:54 offset1:223
	v_mul_f32_e32 v117, v90, v19
	s_waitcnt vmcnt(3)
	v_mul_f32_e32 v90, v93, v25
	v_fma_f32 v120, v92, v24, -v90
	v_mul_f32_e32 v121, v92, v25
	s_waitcnt lgkmcnt(0)
	v_mul_f32_e32 v90, v87, v27
	v_fmac_f32_e32 v117, v91, v18
	v_fmac_f32_e32 v121, v93, v24
	;; [unrolled: 11-line block ×3, first 2 shown]
	v_fma_f32 v122, v90, v30, -v86
	ds_read2_b64 v[86:89], v77 offset0:26 offset1:195
	v_mul_f32_e32 v123, v90, v31
	s_waitcnt vmcnt(1)
	v_mul_f32_e32 v90, v93, v37
	v_fma_f32 v124, v92, v36, -v90
	v_mul_f32_e32 v125, v92, v37
	s_waitcnt lgkmcnt(0)
	v_mul_f32_e32 v90, v87, v39
	v_mul_f32_e32 v127, v86, v39
	v_fma_f32 v126, v86, v38, -v90
	v_fmac_f32_e32 v127, v87, v38
	ds_read_b64 v[86:87], v75 offset:16224
	v_fmac_f32_e32 v125, v93, v36
	ds_read2_b64 v[92:95], v75 offset1:169
	s_waitcnt vmcnt(0)
	v_mul_f32_e32 v90, v89, v41
	v_fma_f32 v104, v88, v40, -v90
	s_waitcnt lgkmcnt(1)
	v_mul_f32_e32 v119, v86, v43
	v_mul_f32_e32 v108, v88, v41
	v_mul_f32_e32 v88, v87, v43
	v_fmac_f32_e32 v119, v87, v42
	s_waitcnt lgkmcnt(0)
	v_mul_f32_e32 v87, v94, v21
	v_fma_f32 v107, v86, v42, -v88
	v_mul_f32_e32 v86, v95, v21
	v_fmac_f32_e32 v87, v95, v20
	v_fmac_f32_e32 v108, v89, v40
	v_fma_f32 v86, v94, v20, -v86
	v_sub_f32_e32 v89, v87, v119
	v_add_f32_e32 v88, v86, v107
	v_mul_f32_e32 v90, 0xbeedf032, v89
	v_mul_f32_e32 v94, 0xbf52af12, v89
	;; [unrolled: 1-line block ×6, first 2 shown]
	v_sub_f32_e32 v89, v86, v107
	v_fmac_f32_e32 v123, v91, v30
	v_fma_f32 v91, v88, s7, -v90
	v_fmac_f32_e32 v90, 0x3f62ad3f, v88
	v_fma_f32 v95, v88, s6, -v94
	;; [unrolled: 2-line block ×6, first 2 shown]
	v_fmac_f32_e32 v118, 0xbf788fa5, v88
	v_add_f32_e32 v88, v87, v119
	v_mul_f32_e32 v109, 0xbeedf032, v89
	v_mul_f32_e32 v128, 0xbf52af12, v89
	;; [unrolled: 1-line block ×6, first 2 shown]
	v_fma_f32 v110, v88, s7, -v109
	v_fma_f32 v129, v88, s6, -v128
	;; [unrolled: 1-line block ×3, first 2 shown]
	v_mov_b32_e32 v136, v89
	v_add_f32_e32 v138, v92, v86
	v_fmac_f32_e32 v109, 0x3f62ad3f, v88
	v_fmac_f32_e32 v128, 0x3f116cb1, v88
	v_fmac_f32_e32 v130, 0x3df6dbef, v88
	v_fma_f32 v133, v88, s9, -v132
	v_fmac_f32_e32 v132, 0xbeb58ec6, v88
	v_fma_f32 v135, v88, s12, -v134
	v_fmac_f32_e32 v134, 0xbf3f9e67, v88
	v_fmac_f32_e32 v136, 0xbf788fa5, v88
	v_fma_f32 v137, v88, s13, -v89
	v_add_f32_e32 v139, v93, v87
	v_add_f32_e32 v140, v92, v91
	;; [unrolled: 1-line block ×47, first 2 shown]
	v_sub_f32_e32 v107, v101, v104
	v_add_f32_e32 v104, v102, v108
	v_sub_f32_e32 v108, v102, v108
	v_add_f32_e32 v119, v93, v119
	v_mul_f32_e32 v93, 0xbf52af12, v108
	v_fma_f32 v94, v92, s6, -v93
	v_mul_f32_e32 v101, 0xbf52af12, v107
	v_add_f32_e32 v133, v94, v140
	v_fma_f32 v94, v104, s6, -v101
	v_fmac_f32_e32 v101, 0x3f116cb1, v104
	v_add_f32_e32 v135, v112, v127
	v_sub_f32_e32 v127, v112, v127
	v_add_f32_e32 v134, v101, v141
	v_add_f32_e32 v101, v103, v126
	v_sub_f32_e32 v126, v103, v126
	v_mul_f32_e32 v102, 0xbf7e222b, v127
	v_fma_f32 v103, v101, s8, -v102
	v_mul_f32_e32 v112, 0xbf7e222b, v126
	v_add_f32_e32 v133, v103, v133
	v_fma_f32 v103, v135, s8, -v112
	v_fmac_f32_e32 v112, 0x3df6dbef, v135
	v_add_f32_e32 v136, v117, v125
	v_sub_f32_e32 v125, v117, v125
	v_add_f32_e32 v134, v112, v134
	v_add_f32_e32 v112, v114, v124
	v_sub_f32_e32 v124, v114, v124
	v_mul_f32_e32 v114, 0xbf6f5d39, v125
	v_fma_f32 v117, v112, s9, -v114
	v_mul_f32_e32 v137, 0xbf6f5d39, v124
	v_add_f32_e32 v133, v117, v133
	v_fma_f32 v117, v136, s9, -v137
	v_fmac_f32_e32 v137, 0xbeb58ec6, v136
	v_add_f32_e32 v134, v137, v134
	v_add_f32_e32 v137, v120, v122
	v_sub_f32_e32 v120, v120, v122
	v_add_f32_e32 v122, v121, v123
	v_sub_f32_e32 v121, v121, v123
	v_mul_f32_e32 v123, 0xbf29c268, v121
	v_fma_f32 v138, v137, s12, -v123
	v_add_f32_e32 v133, v138, v133
	v_mul_f32_e32 v138, 0xbf29c268, v120
	v_fma_f32 v139, v122, s12, -v138
	v_fmac_f32_e32 v138, 0xbf3f9e67, v122
	v_add_f32_e32 v140, v111, v115
	v_sub_f32_e32 v111, v111, v115
	v_add_f32_e32 v134, v138, v134
	v_add_f32_e32 v138, v113, v116
	v_sub_f32_e32 v113, v113, v116
	v_mul_f32_e32 v141, 0xbe750f2a, v111
	v_fma_f32 v115, v138, s13, -v141
	v_mul_f32_e32 v116, 0xbe750f2a, v113
	v_add_f32_e32 v115, v115, v133
	v_fma_f32 v133, v140, s13, -v116
	v_fmac_f32_e32 v116, 0xbf788fa5, v140
	v_add_f32_e32 v116, v116, v134
	v_mul_f32_e32 v134, 0xbf6f5d39, v108
	ds_write2_b64 v75, v[118:119], v[115:116] offset1:169
	v_fma_f32 v115, v92, s9, -v134
	v_mul_f32_e32 v116, 0xbf6f5d39, v107
	v_add_f32_e32 v115, v115, v142
	v_fma_f32 v142, v104, s9, -v116
	v_fmac_f32_e32 v116, 0xbeb58ec6, v104
	v_add_f32_e32 v116, v116, v128
	v_mul_f32_e32 v128, 0xbe750f2a, v127
	v_fma_f32 v118, v101, s13, -v128
	v_add_f32_e32 v115, v118, v115
	v_mul_f32_e32 v118, 0xbe750f2a, v126
	v_fma_f32 v143, v135, s13, -v118
	v_fmac_f32_e32 v118, 0xbf788fa5, v135
	v_mul_f32_e32 v144, 0x3f29c268, v125
	v_add_f32_e32 v116, v118, v116
	v_fma_f32 v118, v112, s12, -v144
	v_add_f32_e32 v115, v118, v115
	v_mul_f32_e32 v118, 0x3f29c268, v124
	v_fma_f32 v145, v136, s12, -v118
	v_fmac_f32_e32 v118, 0xbf3f9e67, v136
	v_mul_f32_e32 v146, 0x3f7e222b, v121
	v_add_f32_e32 v116, v118, v116
	;; [unrolled: 7-line block ×4, first 2 shown]
	v_fma_f32 v118, v92, s13, -v150
	v_mul_f32_e32 v119, 0xbe750f2a, v107
	v_add_f32_e32 v118, v118, v129
	v_fma_f32 v129, v104, s13, -v119
	v_fmac_f32_e32 v119, 0xbf788fa5, v104
	v_add_f32_e32 v119, v119, v130
	v_mul_f32_e32 v130, 0x3f6f5d39, v127
	v_fma_f32 v151, v101, s9, -v130
	v_add_f32_e32 v118, v151, v118
	v_mul_f32_e32 v151, 0x3f6f5d39, v126
	v_fma_f32 v152, v135, s9, -v151
	v_fmac_f32_e32 v151, 0xbeb58ec6, v135
	v_add_f32_e32 v119, v151, v119
	v_mul_f32_e32 v151, 0x3eedf032, v125
	v_fma_f32 v153, v112, s7, -v151
	v_add_f32_e32 v118, v153, v118
	v_mul_f32_e32 v153, 0x3eedf032, v124
	;; [unrolled: 7-line block ×4, first 2 shown]
	v_fma_f32 v158, v140, s12, -v157
	v_fmac_f32_e32 v157, 0xbf3f9e67, v140
	v_add_f32_e32 v119, v157, v119
	ds_write2_b64 v81, v[115:116], v[118:119] offset0:82 offset1:251
	v_mul_f32_e32 v118, 0x3f29c268, v108
	v_fma_f32 v115, v92, s12, -v118
	v_mul_f32_e32 v116, 0x3f29c268, v107
	v_add_f32_e32 v115, v115, v131
	v_fma_f32 v119, v104, s12, -v116
	v_fmac_f32_e32 v116, 0xbf3f9e67, v104
	v_mul_f32_e32 v131, 0x3eedf032, v127
	v_add_f32_e32 v116, v116, v132
	v_fma_f32 v132, v101, s7, -v131
	v_add_f32_e32 v115, v132, v115
	v_mul_f32_e32 v132, 0x3eedf032, v126
	v_fma_f32 v157, v135, s7, -v132
	v_fmac_f32_e32 v132, 0x3f62ad3f, v135
	v_add_f32_e32 v116, v132, v116
	v_mul_f32_e32 v132, 0xbf7e222b, v125
	v_fma_f32 v159, v112, s8, -v132
	v_add_f32_e32 v115, v159, v115
	v_mul_f32_e32 v159, 0xbf7e222b, v124
	v_fma_f32 v160, v136, s8, -v159
	v_fmac_f32_e32 v159, 0x3df6dbef, v136
	v_add_f32_e32 v116, v159, v116
	v_mul_f32_e32 v159, 0x3e750f2a, v121
	;; [unrolled: 7-line block ×7, first 2 shown]
	v_fma_f32 v171, v137, s7, -v169
	v_add_f32_e32 v110, v171, v110
	v_mul_f32_e32 v171, 0x3eedf032, v120
	v_fma_f32 v172, v122, s7, -v171
	v_fmac_f32_e32 v171, 0x3f62ad3f, v122
	v_mul_f32_e32 v173, 0xbf6f5d39, v111
	v_add_f32_e32 v171, v171, v109
	v_fma_f32 v109, v138, s9, -v173
	v_add_f32_e32 v109, v109, v110
	v_mul_f32_e32 v110, 0xbf6f5d39, v113
	v_fma_f32 v174, v140, s9, -v110
	v_fmac_f32_e32 v110, 0xbeb58ec6, v140
	v_add_f32_e32 v110, v110, v171
	v_mul_f32_e32 v108, 0x3eedf032, v108
	ds_write2_b64 v80, v[115:116], v[109:110] offset0:36 offset1:205
	v_fma_f32 v109, v92, s7, -v108
	v_mul_f32_e32 v107, 0x3eedf032, v107
	v_add_f32_e32 v106, v109, v106
	v_mov_b32_e32 v109, v107
	v_fmac_f32_e32 v109, 0x3f62ad3f, v104
	v_add_f32_e32 v105, v109, v105
	v_mul_f32_e32 v109, 0xbf29c268, v127
	v_fma_f32 v110, v101, s12, -v109
	v_add_f32_e32 v106, v110, v106
	v_mul_f32_e32 v110, 0xbf29c268, v126
	v_mov_b32_e32 v115, v110
	v_fmac_f32_e32 v115, 0xbf3f9e67, v135
	v_add_f32_e32 v105, v115, v105
	v_mul_f32_e32 v115, 0x3f52af12, v125
	v_fma_f32 v116, v112, s6, -v115
	v_add_f32_e32 v106, v116, v106
	v_mul_f32_e32 v116, 0x3f52af12, v124
	v_mov_b32_e32 v124, v116
	v_fmac_f32_e32 v124, 0x3f116cb1, v136
	v_mul_f32_e32 v121, 0xbf6f5d39, v121
	v_fmac_f32_e32 v93, 0x3f116cb1, v92
	v_add_f32_e32 v105, v124, v105
	v_fma_f32 v124, v137, s9, -v121
	v_mul_f32_e32 v120, 0xbf6f5d39, v120
	v_add_f32_e32 v86, v93, v86
	v_add_f32_e32 v87, v94, v87
	v_fmac_f32_e32 v102, 0x3df6dbef, v101
	v_add_f32_e32 v106, v124, v106
	v_mov_b32_e32 v124, v120
	v_fmac_f32_e32 v108, 0x3f62ad3f, v92
	v_fma_f32 v104, v104, s7, -v107
	v_fmac_f32_e32 v118, 0xbf3f9e67, v92
	v_fmac_f32_e32 v163, 0x3df6dbef, v92
	;; [unrolled: 1-line block ×4, first 2 shown]
	v_add_f32_e32 v86, v102, v86
	v_add_f32_e32 v87, v103, v87
	v_fmac_f32_e32 v114, 0xbeb58ec6, v112
	v_fmac_f32_e32 v124, 0xbeb58ec6, v122
	v_mul_f32_e32 v111, 0x3f7e222b, v111
	v_add_f32_e32 v100, v108, v100
	v_add_f32_e32 v99, v104, v99
	v_fmac_f32_e32 v109, 0xbf3f9e67, v101
	v_fma_f32 v104, v135, s12, -v110
	v_add_f32_e32 v97, v118, v97
	v_add_f32_e32 v98, v119, v98
	v_fmac_f32_e32 v131, 0x3f62ad3f, v101
	v_add_f32_e32 v95, v163, v95
	v_add_f32_e32 v96, v166, v96
	v_fmac_f32_e32 v165, 0x3f116cb1, v101
	;; [unrolled: 3-line block ×5, first 2 shown]
	v_add_f32_e32 v124, v124, v105
	v_fma_f32 v105, v138, s8, -v111
	v_mul_f32_e32 v113, 0x3f7e222b, v113
	v_add_f32_e32 v100, v109, v100
	v_add_f32_e32 v99, v104, v99
	v_fmac_f32_e32 v115, 0x3f116cb1, v112
	v_fma_f32 v104, v136, s6, -v116
	v_add_f32_e32 v97, v131, v97
	v_add_f32_e32 v98, v157, v98
	v_fmac_f32_e32 v132, 0x3df6dbef, v112
	v_add_f32_e32 v95, v165, v95
	v_add_f32_e32 v96, v168, v96
	v_fmac_f32_e32 v167, 0xbf788fa5, v112
	;; [unrolled: 3-line block ×5, first 2 shown]
	v_add_f32_e32 v105, v105, v106
	v_mov_b32_e32 v106, v113
	v_add_f32_e32 v100, v115, v100
	v_add_f32_e32 v99, v104, v99
	v_fmac_f32_e32 v121, 0xbeb58ec6, v137
	v_fma_f32 v104, v122, s9, -v120
	v_add_f32_e32 v97, v132, v97
	v_add_f32_e32 v98, v160, v98
	v_fmac_f32_e32 v159, 0xbf788fa5, v137
	v_add_f32_e32 v95, v167, v95
	v_add_f32_e32 v96, v170, v96
	v_fmac_f32_e32 v169, 0x3f62ad3f, v137
	;; [unrolled: 3-line block ×5, first 2 shown]
	v_add_f32_e32 v100, v121, v100
	v_add_f32_e32 v104, v104, v99
	v_fma_f32 v107, v140, s8, -v113
	v_fmac_f32_e32 v111, 0x3df6dbef, v138
	v_add_f32_e32 v97, v159, v97
	v_add_f32_e32 v98, v162, v98
	v_fmac_f32_e32 v161, 0x3f116cb1, v138
	v_add_f32_e32 v95, v169, v95
	v_add_f32_e32 v96, v172, v96
	;; [unrolled: 3-line block ×4, first 2 shown]
	v_fmac_f32_e32 v155, 0xbf3f9e67, v138
	ds_write_b64 v75, v[86:87] offset:16224
	v_add_co_u32_e32 v86, vcc, s10, v84
	v_add_f32_e32 v106, v106, v124
	v_add_f32_e32 v99, v111, v100
	;; [unrolled: 1-line block ×11, first 2 shown]
	v_addc_co_u32_e32 v87, vcc, 0, v85, vcc
	ds_write2_b64 v79, v[105:106], v[99:100] offset0:54 offset1:223
	ds_write2_b64 v78, v[95:96], v[97:98] offset0:72 offset1:241
	ds_write2_b64 v77, v[88:89], v[90:91] offset0:26 offset1:195
	s_waitcnt lgkmcnt(0)
	s_barrier
	global_load_dwordx2 v[88:89], v[86:87], off offset:1192
	s_movk_i32 s10, 0x44a8
	v_add_co_u32_e32 v86, vcc, s10, v84
	v_addc_co_u32_e32 v87, vcc, 0, v85, vcc
	global_load_dwordx2 v[90:91], v[86:87], off offset:1352
	global_load_dwordx2 v[92:93], v[86:87], off offset:2704
	;; [unrolled: 1-line block ×3, first 2 shown]
	s_movk_i32 s10, 0x5000
	v_add_co_u32_e32 v86, vcc, s10, v84
	v_addc_co_u32_e32 v87, vcc, 0, v85, vcc
	global_load_dwordx2 v[96:97], v[86:87], off offset:2504
	global_load_dwordx2 v[98:99], v[86:87], off offset:3856
	s_movk_i32 s10, 0x6000
	v_add_co_u32_e32 v86, vcc, s10, v84
	v_addc_co_u32_e32 v87, vcc, 0, v85, vcc
	global_load_dwordx2 v[100:101], v[86:87], off offset:1112
	global_load_dwordx2 v[102:103], v[86:87], off offset:2464
	;; [unrolled: 1-line block ×3, first 2 shown]
	s_movk_i32 s10, 0x7000
	v_add_co_u32_e32 v86, vcc, s10, v84
	v_addc_co_u32_e32 v87, vcc, 0, v85, vcc
	global_load_dwordx2 v[106:107], v[86:87], off offset:1072
	global_load_dwordx2 v[108:109], v[86:87], off offset:2424
	;; [unrolled: 1-line block ×3, first 2 shown]
	s_mov_b32 s10, 0x8000
	v_add_co_u32_e32 v84, vcc, s10, v84
	v_addc_co_u32_e32 v85, vcc, 0, v85, vcc
	global_load_dwordx2 v[112:113], v[84:85], off offset:1032
	ds_read2_b64 v[84:87], v75 offset1:169
	s_waitcnt vmcnt(12) lgkmcnt(0)
	v_mul_f32_e32 v114, v85, v89
	v_mul_f32_e32 v115, v84, v89
	v_fma_f32 v114, v84, v88, -v114
	v_fmac_f32_e32 v115, v85, v88
	s_waitcnt vmcnt(11)
	v_mul_f32_e32 v84, v87, v91
	v_mul_f32_e32 v85, v86, v91
	v_fma_f32 v84, v86, v90, -v84
	v_fmac_f32_e32 v85, v87, v90
	ds_write2_b64 v75, v[114:115], v[84:85] offset1:169
	ds_read2_b64 v[84:87], v81 offset0:82 offset1:251
	s_waitcnt vmcnt(10) lgkmcnt(0)
	v_mul_f32_e32 v88, v85, v93
	v_fma_f32 v114, v84, v92, -v88
	ds_read2_b64 v[88:91], v80 offset0:36 offset1:205
	v_mul_f32_e32 v115, v84, v93
	s_waitcnt vmcnt(9)
	v_mul_f32_e32 v84, v87, v95
	v_fmac_f32_e32 v115, v85, v92
	v_fma_f32 v92, v86, v94, -v84
	v_mul_f32_e32 v93, v86, v95
	s_waitcnt vmcnt(8) lgkmcnt(0)
	v_mul_f32_e32 v84, v89, v97
	v_fmac_f32_e32 v93, v87, v94
	v_fma_f32 v94, v88, v96, -v84
	ds_read2_b64 v[84:87], v79 offset0:54 offset1:223
	v_mul_f32_e32 v95, v88, v97
	s_waitcnt vmcnt(7)
	v_mul_f32_e32 v88, v91, v99
	v_fmac_f32_e32 v95, v89, v96
	v_fma_f32 v96, v90, v98, -v88
	v_mul_f32_e32 v97, v90, v99
	s_waitcnt vmcnt(6) lgkmcnt(0)
	v_mul_f32_e32 v88, v85, v101
	v_fmac_f32_e32 v97, v91, v98
	;; [unrolled: 11-line block ×3, first 2 shown]
	v_fma_f32 v102, v88, v104, -v84
	ds_read2_b64 v[84:87], v77 offset0:26 offset1:195
	v_mul_f32_e32 v103, v88, v105
	v_fmac_f32_e32 v103, v89, v104
	s_waitcnt vmcnt(3)
	v_mul_f32_e32 v88, v91, v107
	v_mul_f32_e32 v89, v90, v107
	v_fma_f32 v88, v90, v106, -v88
	v_fmac_f32_e32 v89, v91, v106
	s_waitcnt vmcnt(2) lgkmcnt(0)
	v_mul_f32_e32 v90, v85, v109
	v_mul_f32_e32 v91, v84, v109
	v_fma_f32 v90, v84, v108, -v90
	v_fmac_f32_e32 v91, v85, v108
	s_waitcnt vmcnt(1)
	v_mul_f32_e32 v84, v87, v111
	v_mul_f32_e32 v85, v86, v111
	v_fma_f32 v84, v86, v110, -v84
	v_fmac_f32_e32 v85, v87, v110
	ds_read_b64 v[86:87], v75 offset:16224
	ds_write2_b64 v81, v[114:115], v[92:93] offset0:82 offset1:251
	ds_write2_b64 v80, v[94:95], v[96:97] offset0:36 offset1:205
	;; [unrolled: 1-line block ×5, first 2 shown]
	s_waitcnt vmcnt(0) lgkmcnt(5)
	v_mul_f32_e32 v84, v87, v113
	v_mul_f32_e32 v85, v86, v113
	v_fma_f32 v84, v86, v112, -v84
	v_fmac_f32_e32 v85, v87, v112
	ds_write_b64 v75, v[84:85] offset:16224
	s_waitcnt lgkmcnt(0)
	s_barrier
	ds_read2_b64 v[94:97], v75 offset1:169
	ds_read2_b64 v[98:101], v81 offset0:82 offset1:251
	ds_read2_b64 v[102:105], v80 offset0:36 offset1:205
	;; [unrolled: 1-line block ×4, first 2 shown]
	s_waitcnt lgkmcnt(4)
	v_add_f32_e32 v84, v94, v96
	v_add_f32_e32 v85, v95, v97
	s_waitcnt lgkmcnt(3)
	v_add_f32_e32 v84, v84, v98
	v_add_f32_e32 v85, v85, v99
	v_add_f32_e32 v84, v84, v100
	v_add_f32_e32 v85, v85, v101
	s_waitcnt lgkmcnt(2)
	v_add_f32_e32 v84, v84, v102
	v_add_f32_e32 v85, v85, v103
	;; [unrolled: 5-line block ×3, first 2 shown]
	v_sub_f32_e32 v84, v102, v108
	v_sub_f32_e32 v90, v103, v109
	v_add_f32_e32 v93, v106, v104
	v_add_f32_e32 v114, v107, v105
	v_sub_f32_e32 v85, v104, v106
	v_sub_f32_e32 v115, v105, v107
	ds_read2_b64 v[102:105], v77 offset0:26 offset1:195
	s_waitcnt lgkmcnt(1)
	v_add_f32_e32 v87, v87, v110
	v_add_f32_e32 v88, v88, v111
	;; [unrolled: 1-line block ×7, first 2 shown]
	s_waitcnt lgkmcnt(0)
	v_add_f32_e32 v106, v104, v98
	v_add_f32_e32 v107, v105, v99
	v_sub_f32_e32 v87, v98, v104
	v_sub_f32_e32 v108, v99, v105
	ds_read_b64 v[98:99], v75 offset:16224
	v_add_f32_e32 v92, v88, v109
	v_add_f32_e32 v92, v92, v103
	;; [unrolled: 1-line block ×3, first 2 shown]
	v_sub_f32_e32 v88, v100, v102
	v_add_f32_e32 v91, v91, v102
	v_add_f32_e32 v102, v92, v105
	s_waitcnt lgkmcnt(0)
	v_sub_f32_e32 v92, v97, v99
	v_add_f32_e32 v116, v103, v101
	v_sub_f32_e32 v100, v101, v103
	v_mul_f32_e32 v103, 0xbeedf032, v92
	v_mul_f32_e32 v105, 0xbf52af12, v92
	;; [unrolled: 1-line block ×6, first 2 shown]
	v_add_f32_e32 v101, v91, v104
	v_add_f32_e32 v91, v98, v96
	v_mov_b32_e32 v124, v92
	v_fma_f32 v104, v91, s7, -v103
	v_fmac_f32_e32 v103, 0x3f62ad3f, v91
	v_fma_f32 v117, v91, s6, -v105
	v_fmac_f32_e32 v105, 0x3f116cb1, v91
	;; [unrolled: 2-line block ×5, first 2 shown]
	v_fmac_f32_e32 v124, 0xbf788fa5, v91
	v_fma_f32 v125, v91, s13, -v92
	v_add_f32_e32 v91, v99, v97
	v_sub_f32_e32 v92, v96, v98
	v_mul_f32_e32 v96, 0x3f62ad3f, v91
	v_mov_b32_e32 v97, v96
	v_fmac_f32_e32 v96, 0xbeedf032, v92
	v_mul_f32_e32 v126, 0x3f116cb1, v91
	v_mul_f32_e32 v128, 0x3df6dbef, v91
	;; [unrolled: 1-line block ×5, first 2 shown]
	v_mov_b32_e32 v127, v126
	v_mov_b32_e32 v129, v128
	;; [unrolled: 1-line block ×5, first 2 shown]
	v_add_f32_e32 v91, v95, v96
	v_mul_f32_e32 v96, 0xbf52af12, v108
	v_fmac_f32_e32 v97, 0x3eedf032, v92
	v_fmac_f32_e32 v127, 0x3f52af12, v92
	;; [unrolled: 1-line block ×11, first 2 shown]
	v_add_f32_e32 v103, v94, v103
	v_add_f32_e32 v92, v94, v104
	;; [unrolled: 1-line block ×14, first 2 shown]
	v_sub_f32_e32 v101, v110, v112
	v_fma_f32 v110, v106, s6, -v96
	v_fmac_f32_e32 v96, 0x3f116cb1, v106
	v_add_f32_e32 v96, v96, v103
	v_mul_f32_e32 v103, 0x3f116cb1, v107
	v_add_f32_e32 v97, v95, v97
	v_add_f32_e32 v105, v95, v127
	;; [unrolled: 1-line block ×13, first 2 shown]
	v_sub_f32_e32 v102, v111, v113
	v_mov_b32_e32 v111, v103
	v_fmac_f32_e32 v111, 0x3f52af12, v87
	v_add_f32_e32 v97, v111, v97
	v_mul_f32_e32 v111, 0xbf7e222b, v100
	v_fma_f32 v112, v109, s8, -v111
	v_fmac_f32_e32 v111, 0x3df6dbef, v109
	v_add_f32_e32 v96, v111, v96
	v_mul_f32_e32 v111, 0x3df6dbef, v116
	v_mov_b32_e32 v113, v111
	v_fmac_f32_e32 v113, 0x3f7e222b, v88
	v_add_f32_e32 v97, v113, v97
	v_mul_f32_e32 v113, 0xbf6f5d39, v90
	v_fma_f32 v135, v86, s9, -v113
	v_fmac_f32_e32 v113, 0xbeb58ec6, v86
	v_add_f32_e32 v96, v113, v96
	v_mul_f32_e32 v113, 0xbeb58ec6, v89
	v_mov_b32_e32 v136, v113
	v_fmac_f32_e32 v136, 0x3f6f5d39, v84
	v_add_f32_e32 v97, v136, v97
	v_mul_f32_e32 v136, 0xbf29c268, v115
	v_fma_f32 v137, v93, s12, -v136
	v_fmac_f32_e32 v136, 0xbf3f9e67, v93
	v_add_f32_e32 v96, v136, v96
	v_mul_f32_e32 v136, 0xbf3f9e67, v114
	v_mov_b32_e32 v138, v136
	v_fmac_f32_e32 v138, 0x3f29c268, v85
	v_add_f32_e32 v97, v138, v97
	v_mul_f32_e32 v138, 0xbe750f2a, v102
	v_fma_f32 v139, v98, s13, -v138
	v_fmac_f32_e32 v138, 0xbf788fa5, v98
	v_add_f32_e32 v96, v138, v96
	v_mul_f32_e32 v138, 0xbf788fa5, v99
	v_mov_b32_e32 v140, v138
	v_fmac_f32_e32 v140, 0x3e750f2a, v101
	v_add_f32_e32 v97, v140, v97
	s_barrier
	ds_write2_b64 v83, v[94:95], v[96:97] offset1:1
	v_mul_f32_e32 v94, 0xbf6f5d39, v108
	v_fma_f32 v140, v106, s9, -v94
	v_fmac_f32_e32 v94, 0xbeb58ec6, v106
	v_add_f32_e32 v94, v94, v104
	v_mul_f32_e32 v104, 0xbeb58ec6, v107
	v_mov_b32_e32 v95, v104
	v_fmac_f32_e32 v95, 0x3f6f5d39, v87
	v_mul_f32_e32 v96, 0xbe750f2a, v100
	v_add_f32_e32 v95, v95, v105
	v_fma_f32 v105, v109, s13, -v96
	v_fmac_f32_e32 v96, 0xbf788fa5, v109
	v_mul_f32_e32 v141, 0xbf788fa5, v116
	v_add_f32_e32 v94, v96, v94
	v_mov_b32_e32 v96, v141
	v_fmac_f32_e32 v96, 0x3e750f2a, v88
	v_add_f32_e32 v95, v96, v95
	v_mul_f32_e32 v96, 0x3f29c268, v90
	v_fma_f32 v142, v86, s12, -v96
	v_fmac_f32_e32 v96, 0xbf3f9e67, v86
	v_mul_f32_e32 v143, 0xbf3f9e67, v89
	v_add_f32_e32 v94, v96, v94
	v_mov_b32_e32 v96, v143
	v_fmac_f32_e32 v96, 0xbf29c268, v84
	v_add_f32_e32 v95, v96, v95
	v_mul_f32_e32 v96, 0x3f7e222b, v115
	;; [unrolled: 8-line block ×4, first 2 shown]
	v_fma_f32 v148, v106, s13, -v96
	v_fmac_f32_e32 v96, 0xbf788fa5, v106
	v_add_f32_e32 v96, v96, v118
	v_mul_f32_e32 v118, 0xbf788fa5, v107
	v_mov_b32_e32 v97, v118
	v_fmac_f32_e32 v97, 0x3e750f2a, v87
	v_add_f32_e32 v97, v97, v127
	v_mul_f32_e32 v127, 0x3f6f5d39, v100
	v_fma_f32 v149, v109, s9, -v127
	v_fmac_f32_e32 v127, 0xbeb58ec6, v109
	v_add_f32_e32 v96, v127, v96
	v_mul_f32_e32 v127, 0xbeb58ec6, v116
	v_mov_b32_e32 v150, v127
	v_fmac_f32_e32 v150, 0xbf6f5d39, v88
	v_add_f32_e32 v97, v150, v97
	v_mul_f32_e32 v150, 0x3eedf032, v90
	;; [unrolled: 8-line block ×4, first 2 shown]
	v_fma_f32 v155, v98, s12, -v154
	v_fmac_f32_e32 v154, 0xbf3f9e67, v98
	v_add_f32_e32 v96, v154, v96
	v_mul_f32_e32 v154, 0xbf3f9e67, v99
	v_mov_b32_e32 v156, v154
	v_fmac_f32_e32 v156, 0x3f29c268, v101
	v_add_f32_e32 v97, v156, v97
	ds_write2_b64 v83, v[94:95], v[96:97] offset0:2 offset1:3
	v_mul_f32_e32 v94, 0x3f29c268, v108
	v_fma_f32 v156, v106, s12, -v94
	v_fmac_f32_e32 v94, 0xbf3f9e67, v106
	v_add_f32_e32 v94, v94, v120
	v_mul_f32_e32 v120, 0xbf3f9e67, v107
	v_mov_b32_e32 v95, v120
	v_fmac_f32_e32 v95, 0xbf29c268, v87
	v_mul_f32_e32 v96, 0x3eedf032, v100
	v_add_f32_e32 v95, v95, v129
	v_fma_f32 v129, v109, s7, -v96
	v_fmac_f32_e32 v96, 0x3f62ad3f, v109
	v_mul_f32_e32 v157, 0x3f62ad3f, v116
	v_add_f32_e32 v94, v96, v94
	v_mov_b32_e32 v96, v157
	v_fmac_f32_e32 v96, 0xbeedf032, v88
	v_add_f32_e32 v95, v96, v95
	v_mul_f32_e32 v96, 0xbf7e222b, v90
	v_fma_f32 v158, v86, s8, -v96
	v_fmac_f32_e32 v96, 0x3df6dbef, v86
	v_mul_f32_e32 v159, 0x3df6dbef, v89
	v_add_f32_e32 v94, v96, v94
	v_mov_b32_e32 v96, v159
	v_fmac_f32_e32 v96, 0x3f7e222b, v84
	v_add_f32_e32 v95, v96, v95
	v_mul_f32_e32 v96, 0x3e750f2a, v115
	;; [unrolled: 8-line block ×4, first 2 shown]
	v_fma_f32 v164, v106, s8, -v96
	v_fmac_f32_e32 v96, 0x3df6dbef, v106
	v_add_f32_e32 v96, v96, v122
	v_mul_f32_e32 v122, 0x3df6dbef, v107
	v_mov_b32_e32 v97, v122
	v_fmac_f32_e32 v97, 0xbf7e222b, v87
	v_add_f32_e32 v97, v97, v131
	v_mul_f32_e32 v131, 0xbf52af12, v100
	v_fma_f32 v165, v109, s6, -v131
	v_fmac_f32_e32 v131, 0x3f116cb1, v109
	v_add_f32_e32 v96, v131, v96
	v_mul_f32_e32 v131, 0x3f116cb1, v116
	v_mov_b32_e32 v166, v131
	v_fmac_f32_e32 v166, 0x3f52af12, v88
	v_add_f32_e32 v97, v166, v97
	v_mul_f32_e32 v166, 0x3e750f2a, v90
	;; [unrolled: 8-line block ×4, first 2 shown]
	v_fma_f32 v171, v98, s9, -v170
	v_fmac_f32_e32 v170, 0xbeb58ec6, v98
	v_add_f32_e32 v96, v170, v96
	v_mul_f32_e32 v170, 0xbeb58ec6, v99
	v_mov_b32_e32 v172, v170
	v_fmac_f32_e32 v172, 0x3f6f5d39, v101
	v_add_f32_e32 v97, v172, v97
	ds_write2_b64 v83, v[94:95], v[96:97] offset0:4 offset1:5
	v_mul_f32_e32 v94, 0x3eedf032, v108
	v_mov_b32_e32 v95, v94
	v_mul_f32_e32 v100, 0xbf29c268, v100
	v_fmac_f32_e32 v95, 0x3f62ad3f, v106
	v_mul_f32_e32 v96, 0x3f62ad3f, v107
	v_mov_b32_e32 v107, v100
	v_add_f32_e32 v95, v95, v124
	v_fmac_f32_e32 v107, 0xbf3f9e67, v109
	v_mov_b32_e32 v97, v96
	v_add_f32_e32 v95, v107, v95
	v_mul_f32_e32 v107, 0xbf3f9e67, v116
	v_fmac_f32_e32 v97, 0xbeedf032, v87
	v_mov_b32_e32 v108, v107
	v_add_f32_e32 v97, v97, v133
	v_fmac_f32_e32 v108, 0x3f29c268, v88
	v_add_f32_e32 v97, v108, v97
	v_mul_f32_e32 v108, 0x3f52af12, v90
	v_mov_b32_e32 v90, v108
	v_fmac_f32_e32 v90, 0x3f116cb1, v86
	v_add_f32_e32 v90, v90, v95
	v_mul_f32_e32 v95, 0x3f116cb1, v89
	v_mov_b32_e32 v89, v95
	;; [unrolled: 4-line block ×3, first 2 shown]
	v_fmac_f32_e32 v115, 0xbeb58ec6, v93
	v_mul_f32_e32 v114, 0xbeb58ec6, v114
	v_add_f32_e32 v90, v115, v90
	v_mov_b32_e32 v115, v114
	v_fmac_f32_e32 v115, 0x3f6f5d39, v85
	v_mul_f32_e32 v102, 0x3f7e222b, v102
	v_fma_f32 v94, v106, s7, -v94
	v_fmac_f32_e32 v96, 0x3eedf032, v87
	v_add_f32_e32 v115, v115, v89
	v_mov_b32_e32 v89, v102
	v_add_f32_e32 v94, v94, v125
	v_add_f32_e32 v96, v96, v134
	v_fma_f32 v100, v109, s12, -v100
	v_fmac_f32_e32 v107, 0xbf29c268, v88
	v_fmac_f32_e32 v89, 0x3df6dbef, v98
	v_mul_f32_e32 v99, 0x3df6dbef, v99
	v_add_f32_e32 v94, v100, v94
	v_add_f32_e32 v96, v107, v96
	v_fma_f32 v86, v86, s6, -v108
	v_fmac_f32_e32 v95, 0x3f52af12, v84
	v_add_f32_e32 v89, v89, v90
	v_mov_b32_e32 v90, v99
	v_add_f32_e32 v86, v86, v94
	v_add_f32_e32 v94, v95, v96
	v_fma_f32 v93, v93, s9, -v97
	v_fmac_f32_e32 v114, 0xbf6f5d39, v85
	v_fmac_f32_e32 v90, 0xbf7e222b, v101
	v_add_f32_e32 v86, v93, v86
	v_add_f32_e32 v94, v114, v94
	v_fma_f32 v93, v98, s8, -v102
	v_fmac_f32_e32 v99, 0x3f7e222b, v101
	v_add_f32_e32 v90, v90, v115
	v_add_f32_e32 v93, v93, v86
	;; [unrolled: 1-line block ×4, first 2 shown]
	v_fmac_f32_e32 v120, 0x3f29c268, v87
	ds_write2_b64 v83, v[89:90], v[93:94] offset0:6 offset1:7
	v_add_f32_e32 v89, v120, v130
	v_add_f32_e32 v86, v129, v86
	v_fmac_f32_e32 v157, 0x3eedf032, v88
	v_add_f32_e32 v89, v157, v89
	v_add_f32_e32 v86, v158, v86
	v_fmac_f32_e32 v159, 0xbf7e222b, v84
	;; [unrolled: 3-line block ×3, first 2 shown]
	v_fmac_f32_e32 v122, 0x3f7e222b, v87
	v_add_f32_e32 v90, v161, v89
	v_add_f32_e32 v89, v162, v86
	;; [unrolled: 1-line block ×4, first 2 shown]
	v_fmac_f32_e32 v131, 0xbf52af12, v88
	v_add_f32_e32 v86, v165, v86
	v_add_f32_e32 v93, v131, v93
	v_fmac_f32_e32 v166, 0x3e750f2a, v84
	v_add_f32_e32 v86, v167, v86
	v_add_f32_e32 v93, v166, v93
	v_fmac_f32_e32 v168, 0x3eedf032, v85
	v_fmac_f32_e32 v163, 0x3f52af12, v101
	v_add_f32_e32 v86, v169, v86
	v_add_f32_e32 v94, v168, v93
	v_fmac_f32_e32 v170, 0xbf6f5d39, v101
	v_add_f32_e32 v90, v163, v90
	v_add_f32_e32 v93, v171, v86
	;; [unrolled: 1-line block ×4, first 2 shown]
	v_fmac_f32_e32 v104, 0xbf6f5d39, v87
	ds_write2_b64 v83, v[93:94], v[89:90] offset0:8 offset1:9
	v_add_f32_e32 v89, v104, v126
	v_add_f32_e32 v86, v105, v86
	v_fmac_f32_e32 v141, 0xbe750f2a, v88
	v_add_f32_e32 v89, v141, v89
	v_add_f32_e32 v86, v142, v86
	v_fmac_f32_e32 v143, 0x3f29c268, v84
	;; [unrolled: 3-line block ×3, first 2 shown]
	v_add_f32_e32 v90, v145, v89
	v_add_f32_e32 v89, v146, v86
	;; [unrolled: 1-line block ×3, first 2 shown]
	v_fmac_f32_e32 v118, 0xbe750f2a, v87
	v_add_f32_e32 v93, v118, v128
	v_add_f32_e32 v86, v149, v86
	v_fmac_f32_e32 v127, 0x3f6f5d39, v88
	v_add_f32_e32 v93, v127, v93
	v_add_f32_e32 v86, v151, v86
	;; [unrolled: 3-line block ×3, first 2 shown]
	v_fmac_f32_e32 v152, 0xbf52af12, v85
	v_fmac_f32_e32 v103, 0xbf52af12, v87
	v_add_f32_e32 v94, v152, v93
	v_add_f32_e32 v93, v155, v86
	;; [unrolled: 1-line block ×4, first 2 shown]
	v_fmac_f32_e32 v111, 0xbf7e222b, v88
	v_add_f32_e32 v86, v112, v86
	v_add_f32_e32 v87, v111, v87
	v_fmac_f32_e32 v113, 0xbf6f5d39, v84
	v_add_f32_e32 v86, v135, v86
	v_add_f32_e32 v84, v113, v87
	v_fmac_f32_e32 v136, 0xbf29c268, v85
	v_fmac_f32_e32 v147, 0x3eedf032, v101
	;; [unrolled: 1-line block ×3, first 2 shown]
	v_add_f32_e32 v86, v137, v86
	v_add_f32_e32 v85, v136, v84
	v_fmac_f32_e32 v138, 0xbe750f2a, v101
	v_add_f32_e32 v90, v147, v90
	v_add_f32_e32 v94, v154, v94
	;; [unrolled: 1-line block ×4, first 2 shown]
	ds_write2_b64 v83, v[93:94], v[89:90] offset0:10 offset1:11
	ds_write_b64 v83, v[84:85] offset:96
	s_waitcnt lgkmcnt(0)
	s_barrier
	ds_read_b64 v[87:88], v75 offset:16224
	ds_read2_b64 v[83:86], v77 offset0:26 offset1:195
	ds_read2_b64 v[89:92], v75 offset1:169
	s_waitcnt lgkmcnt(2)
	v_mul_f32_e32 v93, v47, v88
	v_mul_f32_e32 v47, v47, v87
	s_waitcnt lgkmcnt(1)
	v_mul_f32_e32 v95, v45, v86
	v_mul_f32_e32 v45, v45, v85
	v_fmac_f32_e32 v93, v46, v87
	v_fma_f32 v94, v46, v88, -v47
	v_fmac_f32_e32 v95, v44, v85
	v_fma_f32 v96, v44, v86, -v45
	ds_read2_b64 v[44:47], v78 offset0:72 offset1:241
	v_mul_f32_e32 v97, v35, v84
	v_mul_f32_e32 v35, v35, v83
	v_fmac_f32_e32 v97, v34, v83
	v_fma_f32 v98, v34, v84, -v35
	s_waitcnt lgkmcnt(0)
	v_mul_f32_e32 v99, v33, v47
	v_mul_f32_e32 v33, v33, v46
	v_fmac_f32_e32 v99, v32, v46
	v_fma_f32 v100, v32, v47, -v33
	ds_read2_b64 v[32:35], v79 offset0:54 offset1:223
	v_mul_f32_e32 v101, v15, v45
	v_mul_f32_e32 v15, v15, v44
	v_fmac_f32_e32 v101, v14, v44
	v_fma_f32 v102, v14, v45, -v15
	s_waitcnt lgkmcnt(0)
	v_mul_f32_e32 v83, v13, v35
	v_mul_f32_e32 v13, v13, v34
	;; [unrolled: 10-line block ×4, first 2 shown]
	v_fmac_f32_e32 v14, v2, v8
	v_fma_f32 v9, v2, v9, -v3
	v_mul_f32_e32 v2, v1, v92
	v_mul_f32_e32 v1, v1, v91
	v_fmac_f32_e32 v2, v0, v91
	v_fma_f32 v0, v0, v92, -v1
	v_mul_f32_e32 v15, v5, v11
	v_mul_f32_e32 v5, v5, v10
	v_sub_f32_e32 v3, v0, v94
	v_fmac_f32_e32 v15, v4, v10
	v_fma_f32 v35, v4, v11, -v5
	v_mul_f32_e32 v4, 0xbeedf032, v3
	v_mul_f32_e32 v6, 0xbf52af12, v3
	;; [unrolled: 1-line block ×6, first 2 shown]
	v_add_f32_e32 v1, v2, v93
	v_mov_b32_e32 v92, v3
	v_fma_f32 v5, v1, s7, -v4
	v_fmac_f32_e32 v4, 0x3f62ad3f, v1
	v_fma_f32 v7, v1, s6, -v6
	v_fmac_f32_e32 v6, 0x3f116cb1, v1
	;; [unrolled: 2-line block ×5, first 2 shown]
	v_fmac_f32_e32 v92, 0xbf788fa5, v1
	v_fma_f32 v1, v1, s13, -v3
	v_add_f32_e32 v3, v0, v94
	v_sub_f32_e32 v13, v2, v93
	v_mul_f32_e32 v32, 0x3f62ad3f, v3
	v_mul_f32_e32 v44, 0x3f116cb1, v3
	;; [unrolled: 1-line block ×6, first 2 shown]
	v_mov_b32_e32 v113, v3
	v_fmac_f32_e32 v3, 0xbe750f2a, v13
	v_add_f32_e32 v2, v89, v2
	v_add_f32_e32 v114, v90, v0
	;; [unrolled: 1-line block ×25, first 2 shown]
	v_sub_f32_e32 v9, v9, v96
	v_mov_b32_e32 v33, v32
	v_mov_b32_e32 v45, v44
	v_add_f32_e32 v86, v89, v5
	v_add_f32_e32 v5, v89, v92
	;; [unrolled: 1-line block ×5, first 2 shown]
	v_sub_f32_e32 v3, v14, v95
	v_mul_f32_e32 v14, 0xbf52af12, v9
	v_fmac_f32_e32 v33, 0x3eedf032, v13
	v_fmac_f32_e32 v45, 0x3f52af12, v13
	v_mov_b32_e32 v108, v107
	v_mov_b32_e32 v110, v109
	;; [unrolled: 1-line block ×3, first 2 shown]
	v_add_f32_e32 v115, v89, v4
	v_fma_f32 v94, v2, s6, -v14
	v_fmac_f32_e32 v14, 0x3f116cb1, v2
	v_mul_f32_e32 v95, 0x3f116cb1, v8
	v_fmac_f32_e32 v32, 0xbeedf032, v13
	v_fmac_f32_e32 v44, 0xbf52af12, v13
	;; [unrolled: 1-line block ×9, first 2 shown]
	v_add_f32_e32 v116, v90, v33
	v_add_f32_e32 v117, v89, v6
	;; [unrolled: 1-line block ×11, first 2 shown]
	v_mov_b32_e32 v14, v95
	v_fmac_f32_e32 v14, 0x3f52af12, v3
	v_add_f32_e32 v34, v35, v98
	v_sub_f32_e32 v35, v35, v98
	v_add_f32_e32 v85, v90, v32
	v_add_f32_e32 v46, v90, v44
	;; [unrolled: 1-line block ×11, first 2 shown]
	v_mul_f32_e32 v91, 0xbf7e222b, v35
	v_fma_f32 v96, v14, s8, -v91
	v_fmac_f32_e32 v91, 0x3df6dbef, v14
	v_mul_f32_e32 v98, 0x3df6dbef, v34
	v_sub_f32_e32 v15, v15, v97
	v_add_f32_e32 v97, v91, v89
	v_mov_b32_e32 v89, v98
	v_fmac_f32_e32 v89, 0x3f7e222b, v15
	v_add_f32_e32 v107, v89, v90
	v_add_f32_e32 v89, v105, v99
	v_sub_f32_e32 v90, v105, v99
	v_sub_f32_e32 v99, v106, v100
	v_add_f32_e32 v91, v106, v100
	v_mul_f32_e32 v100, 0xbf6f5d39, v99
	v_fma_f32 v105, v89, s9, -v100
	v_fmac_f32_e32 v100, 0xbeb58ec6, v89
	v_add_f32_e32 v97, v100, v97
	v_mul_f32_e32 v100, 0xbeb58ec6, v91
	v_mov_b32_e32 v106, v100
	v_fmac_f32_e32 v106, 0x3f6f5d39, v90
	v_add_f32_e32 v106, v106, v107
	v_add_f32_e32 v107, v103, v101
	v_sub_f32_e32 v101, v103, v101
	v_add_f32_e32 v103, v104, v102
	v_sub_f32_e32 v102, v104, v102
	v_mul_f32_e32 v104, 0xbf29c268, v102
	v_fma_f32 v109, v107, s12, -v104
	v_fmac_f32_e32 v104, 0xbf3f9e67, v107
	v_add_f32_e32 v97, v104, v97
	v_mul_f32_e32 v104, 0xbf3f9e67, v103
	v_mov_b32_e32 v110, v104
	v_fmac_f32_e32 v110, 0x3f29c268, v101
	v_sub_f32_e32 v113, v88, v84
	v_add_f32_e32 v106, v110, v106
	v_add_f32_e32 v110, v87, v83
	v_sub_f32_e32 v111, v87, v83
	v_mul_f32_e32 v83, 0xbe750f2a, v113
	v_add_f32_e32 v112, v88, v84
	v_fma_f32 v114, v110, s13, -v83
	v_fmac_f32_e32 v83, 0xbf788fa5, v110
	v_add_f32_e32 v83, v83, v97
	v_mul_f32_e32 v97, 0xbf788fa5, v112
	v_mov_b32_e32 v84, v97
	v_fmac_f32_e32 v84, 0x3e750f2a, v111
	v_add_f32_e32 v84, v84, v106
	s_barrier
	ds_write2_b64 v82, v[92:93], v[83:84] offset1:13
	v_mul_f32_e32 v83, 0xbf6f5d39, v9
	v_fma_f32 v92, v2, s9, -v83
	v_fmac_f32_e32 v83, 0xbeb58ec6, v2
	v_mul_f32_e32 v93, 0xbeb58ec6, v8
	v_mul_f32_e32 v87, 0xbe750f2a, v35
	v_add_f32_e32 v83, v83, v117
	v_mov_b32_e32 v84, v93
	v_fma_f32 v106, v14, s13, -v87
	v_fmac_f32_e32 v87, 0xbf788fa5, v14
	v_mul_f32_e32 v115, 0xbf788fa5, v34
	v_fmac_f32_e32 v84, 0x3f6f5d39, v3
	v_add_f32_e32 v83, v87, v83
	v_mov_b32_e32 v87, v115
	v_add_f32_e32 v84, v84, v118
	v_fmac_f32_e32 v87, 0x3e750f2a, v15
	v_add_f32_e32 v84, v87, v84
	v_mul_f32_e32 v87, 0x3f29c268, v99
	v_fma_f32 v116, v89, s12, -v87
	v_fmac_f32_e32 v87, 0xbf3f9e67, v89
	v_mul_f32_e32 v117, 0xbf3f9e67, v91
	v_add_f32_e32 v83, v87, v83
	v_mov_b32_e32 v87, v117
	v_fmac_f32_e32 v87, 0xbf29c268, v90
	v_add_f32_e32 v84, v87, v84
	v_mul_f32_e32 v87, 0x3f7e222b, v102
	v_fma_f32 v118, v107, s8, -v87
	v_fmac_f32_e32 v87, 0x3df6dbef, v107
	v_mul_f32_e32 v120, 0x3df6dbef, v103
	v_add_f32_e32 v83, v87, v83
	v_mov_b32_e32 v87, v120
	;; [unrolled: 8-line block ×3, first 2 shown]
	v_fmac_f32_e32 v87, 0xbeedf032, v111
	v_add_f32_e32 v84, v87, v84
	v_mul_f32_e32 v87, 0xbe750f2a, v9
	v_fma_f32 v123, v2, s13, -v87
	v_fmac_f32_e32 v87, 0xbf788fa5, v2
	v_add_f32_e32 v87, v87, v119
	v_mul_f32_e32 v119, 0xbf788fa5, v8
	v_mov_b32_e32 v88, v119
	v_fmac_f32_e32 v88, 0x3e750f2a, v3
	v_add_f32_e32 v88, v88, v108
	v_mul_f32_e32 v108, 0x3f6f5d39, v35
	v_fma_f32 v124, v14, s9, -v108
	v_fmac_f32_e32 v108, 0xbeb58ec6, v14
	v_add_f32_e32 v87, v108, v87
	v_mul_f32_e32 v108, 0xbeb58ec6, v34
	v_mov_b32_e32 v125, v108
	v_fmac_f32_e32 v125, 0xbf6f5d39, v15
	v_add_f32_e32 v88, v125, v88
	v_mul_f32_e32 v125, 0x3eedf032, v99
	v_fma_f32 v126, v89, s7, -v125
	v_fmac_f32_e32 v125, 0x3f62ad3f, v89
	v_add_f32_e32 v87, v125, v87
	v_mul_f32_e32 v125, 0x3f62ad3f, v91
	v_mov_b32_e32 v127, v125
	v_fmac_f32_e32 v127, 0xbeedf032, v90
	v_add_f32_e32 v88, v127, v88
	v_mul_f32_e32 v127, 0xbf52af12, v102
	v_fma_f32 v128, v107, s6, -v127
	v_fmac_f32_e32 v127, 0x3f116cb1, v107
	v_add_f32_e32 v87, v127, v87
	v_mul_f32_e32 v127, 0x3f116cb1, v103
	v_mov_b32_e32 v129, v127
	v_fmac_f32_e32 v129, 0x3f52af12, v101
	v_add_f32_e32 v88, v129, v88
	v_mul_f32_e32 v129, 0xbf29c268, v113
	v_fma_f32 v130, v110, s12, -v129
	v_fmac_f32_e32 v129, 0xbf3f9e67, v110
	v_add_f32_e32 v87, v129, v87
	v_mul_f32_e32 v129, 0xbf3f9e67, v112
	v_fmac_f32_e32 v93, 0xbf6f5d39, v3
	v_mov_b32_e32 v131, v129
	v_add_f32_e32 v47, v92, v47
	v_add_f32_e32 v46, v93, v46
	v_fmac_f32_e32 v115, 0xbe750f2a, v15
	v_fmac_f32_e32 v119, 0xbe750f2a, v3
	;; [unrolled: 1-line block ×3, first 2 shown]
	v_add_f32_e32 v47, v106, v47
	v_add_f32_e32 v46, v115, v46
	v_fmac_f32_e32 v117, 0x3f29c268, v90
	v_add_f32_e32 v45, v123, v45
	v_add_f32_e32 v44, v119, v44
	v_fmac_f32_e32 v108, 0x3f6f5d39, v15
	v_add_f32_e32 v88, v131, v88
	v_fmac_f32_e32 v95, 0xbf52af12, v3
	v_add_f32_e32 v47, v116, v47
	v_add_f32_e32 v46, v117, v46
	v_fmac_f32_e32 v120, 0x3f7e222b, v101
	v_add_f32_e32 v45, v124, v45
	v_add_f32_e32 v44, v108, v44
	v_fmac_f32_e32 v125, 0x3eedf032, v90
	ds_write2_b64 v82, v[83:84], v[87:88] offset0:26 offset1:39
	v_add_f32_e32 v84, v95, v85
	v_add_f32_e32 v47, v118, v47
	;; [unrolled: 1-line block ×3, first 2 shown]
	v_fmac_f32_e32 v122, 0x3eedf032, v111
	v_add_f32_e32 v45, v126, v45
	v_add_f32_e32 v44, v125, v44
	v_fmac_f32_e32 v127, 0xbf52af12, v101
	v_add_f32_e32 v46, v121, v47
	v_add_f32_e32 v47, v122, v85
	;; [unrolled: 1-line block ×4, first 2 shown]
	v_fmac_f32_e32 v129, 0xbf29c268, v111
	v_add_f32_e32 v44, v130, v45
	v_add_f32_e32 v45, v129, v85
	v_mul_f32_e32 v85, 0x3f29c268, v9
	v_add_f32_e32 v83, v94, v86
	v_fma_f32 v86, v2, s12, -v85
	v_fmac_f32_e32 v85, 0xbf3f9e67, v2
	v_add_f32_e32 v33, v85, v33
	v_mul_f32_e32 v85, 0xbf3f9e67, v8
	v_mov_b32_e32 v87, v85
	v_fmac_f32_e32 v87, 0xbf29c268, v3
	v_add_f32_e32 v32, v87, v32
	v_mul_f32_e32 v87, 0x3eedf032, v35
	v_fma_f32 v88, v14, s7, -v87
	v_fmac_f32_e32 v87, 0x3f62ad3f, v14
	v_add_f32_e32 v33, v87, v33
	v_mul_f32_e32 v87, 0x3f62ad3f, v34
	v_mov_b32_e32 v92, v87
	v_fmac_f32_e32 v92, 0xbeedf032, v15
	v_add_f32_e32 v32, v92, v32
	v_mul_f32_e32 v92, 0xbf7e222b, v99
	;; [unrolled: 8-line block ×3, first 2 shown]
	v_fma_f32 v95, v107, s13, -v94
	v_fmac_f32_e32 v94, 0xbf788fa5, v107
	v_fmac_f32_e32 v98, 0xbf7e222b, v15
	v_add_f32_e32 v33, v94, v33
	v_mul_f32_e32 v94, 0xbf788fa5, v103
	v_add_f32_e32 v83, v96, v83
	v_add_f32_e32 v84, v98, v84
	v_fmac_f32_e32 v100, 0xbf6f5d39, v90
	v_mov_b32_e32 v96, v94
	v_fmac_f32_e32 v85, 0x3f29c268, v3
	v_add_f32_e32 v84, v100, v84
	v_fmac_f32_e32 v104, 0xbf29c268, v101
	v_fmac_f32_e32 v96, 0xbe750f2a, v101
	v_add_f32_e32 v13, v86, v13
	v_add_f32_e32 v12, v85, v12
	v_fmac_f32_e32 v87, 0x3eedf032, v15
	v_add_f32_e32 v84, v104, v84
	v_fmac_f32_e32 v97, 0xbe750f2a, v111
	v_add_f32_e32 v96, v96, v32
	v_mul_f32_e32 v32, 0x3f52af12, v113
	v_add_f32_e32 v13, v88, v13
	v_add_f32_e32 v12, v87, v12
	v_fmac_f32_e32 v92, 0xbf7e222b, v90
	v_add_f32_e32 v84, v97, v84
	v_fma_f32 v97, v110, s6, -v32
	v_fmac_f32_e32 v32, 0x3f116cb1, v110
	v_mul_f32_e32 v98, 0x3f116cb1, v112
	v_add_f32_e32 v13, v93, v13
	v_add_f32_e32 v12, v92, v12
	v_fmac_f32_e32 v94, 0x3e750f2a, v101
	v_add_f32_e32 v32, v32, v33
	v_mov_b32_e32 v33, v98
	v_add_f32_e32 v13, v95, v13
	v_add_f32_e32 v85, v94, v12
	v_fmac_f32_e32 v98, 0x3f52af12, v111
	v_add_f32_e32 v12, v97, v13
	v_add_f32_e32 v13, v98, v85
	v_mul_f32_e32 v85, 0x3f7e222b, v9
	v_fma_f32 v86, v2, s8, -v85
	v_fmac_f32_e32 v85, 0x3df6dbef, v2
	v_add_f32_e32 v11, v85, v11
	v_mul_f32_e32 v85, 0x3df6dbef, v8
	v_mov_b32_e32 v87, v85
	v_fmac_f32_e32 v87, 0xbf7e222b, v3
	v_add_f32_e32 v10, v87, v10
	v_mul_f32_e32 v87, 0xbf52af12, v35
	v_fma_f32 v88, v14, s6, -v87
	v_fmac_f32_e32 v87, 0x3f116cb1, v14
	v_add_f32_e32 v11, v87, v11
	v_mul_f32_e32 v87, 0x3f116cb1, v34
	v_mov_b32_e32 v92, v87
	v_fmac_f32_e32 v92, 0x3f52af12, v15
	;; [unrolled: 8-line block ×3, first 2 shown]
	v_add_f32_e32 v10, v94, v10
	v_mul_f32_e32 v94, 0x3eedf032, v102
	v_fma_f32 v95, v107, s7, -v94
	v_fmac_f32_e32 v94, 0x3f62ad3f, v107
	v_fmac_f32_e32 v33, 0xbf52af12, v111
	v_add_f32_e32 v11, v94, v11
	v_mul_f32_e32 v94, 0x3f62ad3f, v103
	v_add_f32_e32 v33, v33, v96
	v_mov_b32_e32 v96, v94
	v_fmac_f32_e32 v85, 0x3f7e222b, v3
	v_fmac_f32_e32 v96, 0xbeedf032, v101
	v_add_f32_e32 v7, v86, v7
	v_add_f32_e32 v6, v85, v6
	v_fmac_f32_e32 v87, 0xbf52af12, v15
	v_add_f32_e32 v96, v96, v10
	v_mul_f32_e32 v10, 0xbf6f5d39, v113
	v_add_f32_e32 v7, v88, v7
	v_add_f32_e32 v6, v87, v6
	v_fmac_f32_e32 v92, 0x3e750f2a, v90
	v_fma_f32 v97, v110, s9, -v10
	v_fmac_f32_e32 v10, 0xbeb58ec6, v110
	v_mul_f32_e32 v98, 0xbeb58ec6, v112
	v_add_f32_e32 v7, v93, v7
	v_add_f32_e32 v6, v92, v6
	v_fmac_f32_e32 v94, 0x3eedf032, v101
	v_add_f32_e32 v10, v10, v11
	v_mov_b32_e32 v11, v98
	v_add_f32_e32 v7, v95, v7
	v_add_f32_e32 v85, v94, v6
	v_fmac_f32_e32 v98, 0xbf6f5d39, v111
	v_mul_f32_e32 v9, 0x3eedf032, v9
	v_add_f32_e32 v6, v97, v7
	v_add_f32_e32 v7, v98, v85
	v_mov_b32_e32 v85, v9
	v_fmac_f32_e32 v85, 0x3f62ad3f, v2
	v_mul_f32_e32 v8, 0x3f62ad3f, v8
	v_add_f32_e32 v5, v85, v5
	v_mov_b32_e32 v85, v8
	v_fmac_f32_e32 v85, 0xbeedf032, v3
	v_mul_f32_e32 v35, 0xbf29c268, v35
	;; [unrolled: 4-line block ×3, first 2 shown]
	v_add_f32_e32 v5, v85, v5
	v_mov_b32_e32 v85, v34
	v_fmac_f32_e32 v85, 0x3f29c268, v15
	v_add_f32_e32 v4, v85, v4
	v_mul_f32_e32 v85, 0x3f52af12, v99
	v_mov_b32_e32 v86, v85
	v_fmac_f32_e32 v86, 0x3f116cb1, v89
	v_add_f32_e32 v5, v86, v5
	v_mul_f32_e32 v86, 0x3f116cb1, v91
	;; [unrolled: 4-line block ×4, first 2 shown]
	v_mov_b32_e32 v91, v88
	v_fmac_f32_e32 v91, 0x3f6f5d39, v101
	v_mul_f32_e32 v92, 0x3f7e222b, v113
	v_fma_f32 v2, v2, s7, -v9
	v_fmac_f32_e32 v8, 0x3eedf032, v3
	v_add_f32_e32 v91, v91, v4
	v_mov_b32_e32 v4, v92
	v_add_f32_e32 v1, v2, v1
	v_add_f32_e32 v0, v8, v0
	v_fma_f32 v2, v14, s12, -v35
	v_fmac_f32_e32 v34, 0xbf29c268, v15
	v_fmac_f32_e32 v4, 0x3df6dbef, v110
	v_mul_f32_e32 v93, 0x3df6dbef, v112
	v_add_f32_e32 v1, v2, v1
	v_add_f32_e32 v0, v34, v0
	v_fma_f32 v2, v89, s6, -v85
	v_fmac_f32_e32 v86, 0x3f52af12, v90
	v_add_f32_e32 v4, v4, v5
	v_mov_b32_e32 v5, v93
	v_add_f32_e32 v1, v2, v1
	v_add_f32_e32 v0, v86, v0
	v_fma_f32 v2, v107, s9, -v87
	v_fmac_f32_e32 v88, 0xbf6f5d39, v101
	v_add_f32_e32 v83, v105, v83
	v_fmac_f32_e32 v11, 0x3f6f5d39, v111
	v_fmac_f32_e32 v5, 0xbf7e222b, v111
	v_add_f32_e32 v1, v2, v1
	v_add_f32_e32 v2, v88, v0
	v_fma_f32 v0, v110, s8, -v92
	v_fmac_f32_e32 v93, 0x3f7e222b, v111
	v_add_f32_e32 v83, v109, v83
	v_add_f32_e32 v11, v11, v96
	;; [unrolled: 1-line block ×6, first 2 shown]
	ds_write2_b64 v82, v[32:33], v[10:11] offset0:52 offset1:65
	ds_write2_b64 v82, v[4:5], v[0:1] offset0:78 offset1:91
	;; [unrolled: 1-line block ×4, first 2 shown]
	ds_write_b64 v82, v[83:84] offset:1248
	s_waitcnt lgkmcnt(0)
	s_barrier
	ds_read2_b64 v[4:7], v75 offset1:169
	ds_read2_b64 v[0:3], v81 offset0:82 offset1:251
	ds_read2_b64 v[8:11], v80 offset0:36 offset1:205
	;; [unrolled: 1-line block ×3, first 2 shown]
	s_waitcnt lgkmcnt(3)
	v_mul_f32_e32 v32, v21, v7
	s_waitcnt lgkmcnt(2)
	v_mul_f32_e32 v34, v23, v1
	v_fmac_f32_e32 v34, v22, v0
	v_mul_f32_e32 v0, v23, v0
	v_fmac_f32_e32 v32, v20, v6
	v_mul_f32_e32 v6, v21, v6
	v_fma_f32 v35, v22, v1, -v0
	v_mul_f32_e32 v44, v17, v3
	v_mul_f32_e32 v0, v17, v2
	v_fma_f32 v33, v20, v7, -v6
	v_fmac_f32_e32 v44, v16, v2
	v_fma_f32 v16, v16, v3, -v0
	ds_read2_b64 v[20:23], v78 offset0:72 offset1:241
	s_waitcnt lgkmcnt(2)
	v_mul_f32_e32 v17, v19, v9
	v_mul_f32_e32 v0, v19, v8
	v_fmac_f32_e32 v17, v18, v8
	v_fma_f32 v18, v18, v9, -v0
	ds_read2_b64 v[6:9], v77 offset0:26 offset1:195
	v_mul_f32_e32 v19, v25, v11
	v_mul_f32_e32 v0, v25, v10
	v_fmac_f32_e32 v19, v24, v10
	v_fma_f32 v24, v24, v11, -v0
	s_waitcnt lgkmcnt(2)
	v_mul_f32_e32 v0, v27, v13
	v_fmac_f32_e32 v0, v26, v12
	v_mul_f32_e32 v1, v27, v12
	ds_read_b64 v[10:11], v75 offset:16224
	s_waitcnt lgkmcnt(2)
	v_mul_f32_e32 v12, v31, v21
	v_fma_f32 v1, v26, v13, -v1
	v_fmac_f32_e32 v12, v30, v20
	v_mul_f32_e32 v13, v31, v20
	s_waitcnt lgkmcnt(1)
	v_mul_f32_e32 v20, v39, v7
	v_fmac_f32_e32 v20, v38, v6
	v_mul_f32_e32 v6, v39, v6
	v_fma_f32 v6, v38, v7, -v6
	v_mul_f32_e32 v7, v41, v9
	v_fmac_f32_e32 v7, v40, v8
	v_mul_f32_e32 v8, v41, v8
	v_fma_f32 v8, v40, v9, -v8
	s_waitcnt lgkmcnt(0)
	v_mul_f32_e32 v9, v43, v11
	v_mul_f32_e32 v3, v29, v14
	v_fmac_f32_e32 v9, v42, v10
	v_mul_f32_e32 v10, v43, v10
	v_mul_f32_e32 v2, v29, v15
	v_fma_f32 v3, v28, v15, -v3
	v_mul_f32_e32 v15, v37, v22
	v_fma_f32 v10, v42, v11, -v10
	v_fmac_f32_e32 v2, v28, v14
	v_mul_f32_e32 v14, v37, v23
	v_fma_f32 v15, v36, v23, -v15
	v_sub_f32_e32 v23, v33, v10
	v_mul_f32_e32 v25, 0xbeedf032, v23
	v_mul_f32_e32 v29, 0xbf52af12, v23
	;; [unrolled: 1-line block ×6, first 2 shown]
	v_fma_f32 v13, v30, v21, -v13
	v_add_f32_e32 v11, v32, v9
	v_add_f32_e32 v21, v33, v10
	v_mov_b32_e32 v41, v23
	v_fmac_f32_e32 v14, v36, v22
	v_fma_f32 v26, v11, s7, -v25
	v_fmac_f32_e32 v25, 0x3f62ad3f, v11
	v_mul_f32_e32 v27, 0x3f62ad3f, v21
	v_fma_f32 v30, v11, s6, -v29
	v_fmac_f32_e32 v29, 0x3f116cb1, v11
	v_fma_f32 v36, v11, s8, -v31
	v_fmac_f32_e32 v31, 0x3df6dbef, v11
	v_fma_f32 v38, v11, s9, -v37
	v_fmac_f32_e32 v37, 0xbeb58ec6, v11
	v_fma_f32 v40, v11, s12, -v39
	v_fmac_f32_e32 v39, 0xbf3f9e67, v11
	v_fmac_f32_e32 v41, 0xbf788fa5, v11
	v_fma_f32 v11, v11, s13, -v23
	v_mul_f32_e32 v23, 0x3f116cb1, v21
	v_mul_f32_e32 v43, 0x3df6dbef, v21
	;; [unrolled: 1-line block ×5, first 2 shown]
	v_sub_f32_e32 v22, v32, v9
	v_mov_b32_e32 v28, v27
	v_mov_b32_e32 v42, v23
	v_mov_b32_e32 v45, v43
	v_mov_b32_e32 v47, v46
	v_mov_b32_e32 v83, v82
	v_mov_b32_e32 v84, v21
	v_fmac_f32_e32 v28, 0x3eedf032, v22
	v_fmac_f32_e32 v27, 0xbeedf032, v22
	v_fmac_f32_e32 v42, 0x3f52af12, v22
	v_fmac_f32_e32 v23, 0xbf52af12, v22
	v_fmac_f32_e32 v45, 0x3f7e222b, v22
	v_fmac_f32_e32 v43, 0xbf7e222b, v22
	v_fmac_f32_e32 v47, 0x3f6f5d39, v22
	v_fmac_f32_e32 v46, 0xbf6f5d39, v22
	v_fmac_f32_e32 v83, 0x3f29c268, v22
	v_fmac_f32_e32 v82, 0xbf29c268, v22
	v_fmac_f32_e32 v84, 0x3e750f2a, v22
	v_fmac_f32_e32 v21, 0xbe750f2a, v22
	v_add_f32_e32 v22, v4, v32
	v_add_f32_e32 v32, v5, v33
	;; [unrolled: 1-line block ×48, first 2 shown]
	v_sub_f32_e32 v8, v35, v8
	v_add_f32_e32 v4, v4, v9
	v_add_f32_e32 v9, v34, v7
	v_mul_f32_e32 v22, 0xbf52af12, v8
	v_fma_f32 v32, v9, s6, -v22
	v_fmac_f32_e32 v22, 0x3f116cb1, v9
	v_sub_f32_e32 v7, v34, v7
	v_add_f32_e32 v22, v22, v25
	v_mul_f32_e32 v25, 0x3f116cb1, v10
	v_mov_b32_e32 v34, v25
	v_fmac_f32_e32 v25, 0xbf52af12, v7
	v_add_f32_e32 v25, v25, v27
	v_mul_f32_e32 v27, 0xbf6f5d39, v8
	v_add_f32_e32 v26, v32, v26
	v_fma_f32 v32, v9, s9, -v27
	v_fmac_f32_e32 v27, 0xbeb58ec6, v9
	v_fmac_f32_e32 v34, 0x3f52af12, v7
	v_add_f32_e32 v27, v27, v29
	v_mul_f32_e32 v29, 0xbeb58ec6, v10
	v_add_f32_e32 v28, v34, v28
	v_mov_b32_e32 v34, v29
	v_fmac_f32_e32 v29, 0xbf6f5d39, v7
	v_add_f32_e32 v23, v29, v23
	v_mul_f32_e32 v29, 0xbe750f2a, v8
	v_add_f32_e32 v30, v32, v30
	v_fma_f32 v32, v9, s13, -v29
	v_fmac_f32_e32 v29, 0xbf788fa5, v9
	v_mul_f32_e32 v35, 0x3f29c268, v8
	v_fmac_f32_e32 v34, 0x3f6f5d39, v7
	v_add_f32_e32 v29, v29, v31
	v_mul_f32_e32 v31, 0xbf788fa5, v10
	v_add_f32_e32 v32, v32, v36
	v_fma_f32 v36, v9, s12, -v35
	v_add_f32_e32 v33, v34, v33
	v_mov_b32_e32 v34, v31
	v_fmac_f32_e32 v31, 0xbe750f2a, v7
	v_add_f32_e32 v36, v36, v38
	v_mul_f32_e32 v38, 0x3f7e222b, v8
	v_add_f32_e32 v31, v31, v43
	v_fmac_f32_e32 v35, 0xbf3f9e67, v9
	v_fma_f32 v43, v9, s8, -v38
	v_mul_f32_e32 v8, 0x3eedf032, v8
	v_fmac_f32_e32 v34, 0x3e750f2a, v7
	v_add_f32_e32 v35, v35, v37
	v_mul_f32_e32 v37, 0xbf3f9e67, v10
	v_fmac_f32_e32 v38, 0x3df6dbef, v9
	v_add_f32_e32 v40, v43, v40
	v_mov_b32_e32 v43, v8
	v_add_f32_e32 v34, v34, v42
	v_mov_b32_e32 v42, v37
	v_add_f32_e32 v38, v38, v39
	v_mul_f32_e32 v39, 0x3df6dbef, v10
	v_fmac_f32_e32 v43, 0x3f62ad3f, v9
	v_mul_f32_e32 v10, 0x3f62ad3f, v10
	v_fma_f32 v8, v9, s7, -v8
	v_fmac_f32_e32 v42, 0xbf29c268, v7
	v_add_f32_e32 v41, v43, v41
	v_mov_b32_e32 v43, v10
	v_add_f32_e32 v8, v8, v11
	v_fmac_f32_e32 v10, 0x3eedf032, v7
	v_add_f32_e32 v11, v16, v6
	v_sub_f32_e32 v16, v16, v6
	v_add_f32_e32 v42, v42, v45
	v_mov_b32_e32 v45, v39
	v_add_f32_e32 v9, v10, v21
	v_add_f32_e32 v10, v44, v20
	v_mul_f32_e32 v6, 0xbf7e222b, v16
	v_fmac_f32_e32 v37, 0x3f29c268, v7
	v_fmac_f32_e32 v45, 0xbf7e222b, v7
	;; [unrolled: 1-line block ×4, first 2 shown]
	v_fma_f32 v7, v10, s8, -v6
	v_fmac_f32_e32 v6, 0x3df6dbef, v10
	v_sub_f32_e32 v20, v44, v20
	v_add_f32_e32 v21, v6, v22
	v_mul_f32_e32 v6, 0x3df6dbef, v11
	v_mov_b32_e32 v22, v6
	v_fmac_f32_e32 v6, 0xbf7e222b, v20
	v_add_f32_e32 v25, v6, v25
	v_mul_f32_e32 v6, 0xbe750f2a, v16
	v_add_f32_e32 v26, v7, v26
	v_fma_f32 v7, v10, s13, -v6
	v_fmac_f32_e32 v6, 0xbf788fa5, v10
	v_fmac_f32_e32 v22, 0x3f7e222b, v20
	v_add_f32_e32 v27, v6, v27
	v_mul_f32_e32 v6, 0xbf788fa5, v11
	v_add_f32_e32 v22, v22, v28
	v_mov_b32_e32 v28, v6
	v_fmac_f32_e32 v6, 0xbe750f2a, v20
	v_add_f32_e32 v23, v6, v23
	v_mul_f32_e32 v6, 0x3f6f5d39, v16
	v_add_f32_e32 v30, v7, v30
	v_fma_f32 v7, v10, s9, -v6
	v_fmac_f32_e32 v6, 0xbeb58ec6, v10
	v_fmac_f32_e32 v28, 0x3e750f2a, v20
	v_add_f32_e32 v29, v6, v29
	v_mul_f32_e32 v6, 0xbeb58ec6, v11
	v_add_f32_e32 v28, v28, v33
	v_mov_b32_e32 v33, v6
	v_fmac_f32_e32 v6, 0x3f6f5d39, v20
	v_add_f32_e32 v31, v6, v31
	v_mul_f32_e32 v6, 0x3eedf032, v16
	v_fmac_f32_e32 v33, 0xbf6f5d39, v20
	v_add_f32_e32 v32, v7, v32
	v_fma_f32 v7, v10, s7, -v6
	v_fmac_f32_e32 v6, 0x3f62ad3f, v10
	v_add_f32_e32 v33, v33, v34
	v_add_f32_e32 v34, v6, v35
	v_mul_f32_e32 v6, 0x3f62ad3f, v11
	v_add_f32_e32 v37, v37, v46
	v_mov_b32_e32 v35, v6
	v_fmac_f32_e32 v6, 0x3eedf032, v20
	v_fmac_f32_e32 v35, 0xbeedf032, v20
	v_add_f32_e32 v37, v6, v37
	v_mul_f32_e32 v6, 0xbf52af12, v16
	v_add_f32_e32 v35, v35, v42
	v_add_f32_e32 v36, v7, v36
	v_fma_f32 v7, v10, s6, -v6
	v_fmac_f32_e32 v6, 0x3f116cb1, v10
	v_mul_f32_e32 v42, 0x3f116cb1, v11
	v_add_f32_e32 v39, v39, v82
	v_add_f32_e32 v38, v6, v38
	v_mov_b32_e32 v6, v42
	v_fmac_f32_e32 v42, 0xbf52af12, v20
	v_mul_f32_e32 v16, 0xbf29c268, v16
	v_add_f32_e32 v39, v42, v39
	v_mov_b32_e32 v42, v16
	v_fmac_f32_e32 v42, 0xbf3f9e67, v10
	v_mul_f32_e32 v11, 0xbf3f9e67, v11
	v_add_f32_e32 v41, v42, v41
	v_mov_b32_e32 v42, v11
	v_fmac_f32_e32 v11, 0xbf29c268, v20
	v_fma_f32 v10, v10, s12, -v16
	v_add_f32_e32 v9, v11, v9
	v_add_f32_e32 v11, v18, v15
	;; [unrolled: 1-line block ×4, first 2 shown]
	v_sub_f32_e32 v14, v17, v14
	v_sub_f32_e32 v15, v18, v15
	v_mul_f32_e32 v18, 0xbeb58ec6, v11
	v_fmac_f32_e32 v6, 0x3f52af12, v20
	v_fmac_f32_e32 v42, 0x3f29c268, v20
	v_mul_f32_e32 v16, 0xbf6f5d39, v15
	v_mov_b32_e32 v20, v18
	v_fmac_f32_e32 v18, 0xbf6f5d39, v14
	v_fma_f32 v17, v10, s9, -v16
	v_fmac_f32_e32 v16, 0xbeb58ec6, v10
	v_add_f32_e32 v18, v18, v25
	v_mul_f32_e32 v25, 0xbf3f9e67, v11
	v_add_f32_e32 v16, v16, v21
	v_fmac_f32_e32 v20, 0x3f6f5d39, v14
	v_add_f32_e32 v17, v17, v26
	v_mul_f32_e32 v21, 0x3f29c268, v15
	v_mov_b32_e32 v26, v25
	v_fmac_f32_e32 v25, 0x3f29c268, v14
	v_add_f32_e32 v20, v20, v22
	v_fma_f32 v22, v10, s12, -v21
	v_fmac_f32_e32 v21, 0xbf3f9e67, v10
	v_fmac_f32_e32 v26, 0xbf29c268, v14
	v_add_f32_e32 v23, v25, v23
	v_mul_f32_e32 v25, 0x3eedf032, v15
	v_add_f32_e32 v21, v21, v27
	v_add_f32_e32 v26, v26, v28
	v_fma_f32 v27, v10, s7, -v25
	v_fmac_f32_e32 v25, 0x3f62ad3f, v10
	v_mul_f32_e32 v28, 0x3f62ad3f, v11
	v_add_f32_e32 v25, v25, v29
	v_mov_b32_e32 v29, v28
	v_add_f32_e32 v22, v22, v30
	v_fmac_f32_e32 v29, 0xbeedf032, v14
	v_add_f32_e32 v27, v27, v32
	v_fmac_f32_e32 v28, 0x3eedf032, v14
	v_mul_f32_e32 v30, 0xbf7e222b, v15
	v_mul_f32_e32 v32, 0x3df6dbef, v11
	v_add_f32_e32 v29, v29, v33
	v_add_f32_e32 v28, v28, v31
	v_fma_f32 v31, v10, s8, -v30
	v_fmac_f32_e32 v30, 0x3df6dbef, v10
	v_mov_b32_e32 v33, v32
	v_add_f32_e32 v30, v30, v34
	v_fmac_f32_e32 v33, 0x3f7e222b, v14
	v_add_f32_e32 v31, v31, v36
	v_fmac_f32_e32 v32, 0xbf7e222b, v14
	v_mul_f32_e32 v34, 0x3e750f2a, v15
	v_mul_f32_e32 v36, 0xbf788fa5, v11
	v_add_f32_e32 v33, v33, v35
	v_add_f32_e32 v32, v32, v37
	v_fma_f32 v35, v10, s13, -v34
	v_fmac_f32_e32 v34, 0xbf788fa5, v10
	v_mov_b32_e32 v37, v36
	v_fmac_f32_e32 v36, 0x3e750f2a, v14
	v_mul_f32_e32 v15, 0x3f52af12, v15
	v_mul_f32_e32 v11, 0x3f116cb1, v11
	v_add_f32_e32 v34, v34, v38
	v_add_f32_e32 v36, v36, v39
	v_mov_b32_e32 v38, v15
	v_mov_b32_e32 v39, v11
	v_fmac_f32_e32 v11, 0x3f52af12, v14
	v_fmac_f32_e32 v38, 0x3f116cb1, v10
	v_fma_f32 v10, v10, s6, -v15
	v_add_f32_e32 v9, v11, v9
	v_add_f32_e32 v11, v24, v13
	v_sub_f32_e32 v13, v24, v13
	v_fmac_f32_e32 v37, 0xbe750f2a, v14
	v_fmac_f32_e32 v39, 0xbf52af12, v14
	v_add_f32_e32 v8, v10, v8
	v_add_f32_e32 v10, v19, v12
	v_mul_f32_e32 v14, 0xbf29c268, v13
	v_fma_f32 v15, v10, s12, -v14
	v_fmac_f32_e32 v14, 0xbf3f9e67, v10
	v_add_f32_e32 v14, v14, v16
	v_mul_f32_e32 v16, 0xbf3f9e67, v11
	v_sub_f32_e32 v12, v19, v12
	v_mov_b32_e32 v19, v16
	v_fmac_f32_e32 v19, 0x3f29c268, v12
	v_add_f32_e32 v15, v15, v17
	v_fmac_f32_e32 v16, 0xbf29c268, v12
	v_mul_f32_e32 v17, 0x3f7e222b, v13
	v_add_f32_e32 v19, v19, v20
	v_add_f32_e32 v16, v16, v18
	v_fma_f32 v18, v10, s8, -v17
	v_fmac_f32_e32 v17, 0x3df6dbef, v10
	v_mul_f32_e32 v20, 0x3df6dbef, v11
	v_add_f32_e32 v17, v17, v21
	v_mov_b32_e32 v21, v20
	v_add_f32_e32 v18, v18, v22
	v_fmac_f32_e32 v20, 0x3f7e222b, v12
	v_mul_f32_e32 v22, 0xbf52af12, v13
	v_fmac_f32_e32 v21, 0xbf7e222b, v12
	v_add_f32_e32 v20, v20, v23
	v_fma_f32 v23, v10, s6, -v22
	v_fmac_f32_e32 v22, 0x3f116cb1, v10
	v_mul_f32_e32 v24, 0x3f116cb1, v11
	v_add_f32_e32 v21, v21, v26
	v_add_f32_e32 v22, v22, v25
	v_mov_b32_e32 v25, v24
	v_fmac_f32_e32 v24, 0xbf52af12, v12
	v_mul_f32_e32 v26, 0x3e750f2a, v13
	v_fmac_f32_e32 v25, 0x3f52af12, v12
	v_add_f32_e32 v23, v23, v27
	v_add_f32_e32 v24, v24, v28
	v_fma_f32 v27, v10, s13, -v26
	v_fmac_f32_e32 v26, 0xbf788fa5, v10
	v_mul_f32_e32 v28, 0xbf788fa5, v11
	v_add_f32_e32 v40, v7, v40
	v_add_f32_e32 v25, v25, v29
	;; [unrolled: 1-line block ×3, first 2 shown]
	v_mov_b32_e32 v29, v28
	v_fmac_f32_e32 v28, 0x3e750f2a, v12
	v_mul_f32_e32 v30, 0x3eedf032, v13
	v_add_f32_e32 v43, v43, v83
	v_add_f32_e32 v35, v35, v40
	;; [unrolled: 1-line block ×4, first 2 shown]
	v_fma_f32 v31, v10, s7, -v30
	v_mul_f32_e32 v32, 0x3f62ad3f, v11
	v_mul_f32_e32 v11, 0xbeb58ec6, v11
	v_add_f32_e32 v42, v42, v43
	v_fmac_f32_e32 v30, 0x3f62ad3f, v10
	v_add_f32_e32 v31, v31, v35
	v_mul_f32_e32 v13, 0xbf6f5d39, v13
	v_mov_b32_e32 v35, v11
	v_add_f32_e32 v39, v39, v42
	v_add_f32_e32 v30, v30, v34
	v_mov_b32_e32 v34, v13
	v_fmac_f32_e32 v35, 0x3f6f5d39, v12
	v_add_f32_e32 v45, v45, v47
	v_add_f32_e32 v38, v38, v41
	v_fmac_f32_e32 v29, 0xbe750f2a, v12
	v_fmac_f32_e32 v34, 0xbeb58ec6, v10
	v_add_f32_e32 v35, v35, v39
	v_add_f32_e32 v39, v1, v3
	v_sub_f32_e32 v41, v1, v3
	v_add_f32_e32 v44, v6, v45
	v_add_f32_e32 v29, v29, v33
	v_mov_b32_e32 v33, v32
	v_fmac_f32_e32 v32, 0x3eedf032, v12
	v_add_f32_e32 v34, v34, v38
	v_fma_f32 v10, v10, s9, -v13
	v_add_f32_e32 v38, v0, v2
	v_sub_f32_e32 v40, v0, v2
	v_mul_f32_e32 v0, 0xbe750f2a, v41
	v_mul_f32_e32 v3, 0xbf788fa5, v39
	v_add_f32_e32 v37, v37, v44
	v_fmac_f32_e32 v33, 0xbeedf032, v12
	v_add_f32_e32 v32, v32, v36
	v_add_f32_e32 v36, v10, v8
	v_fmac_f32_e32 v11, 0xbf6f5d39, v12
	v_fma_f32 v2, v38, s13, -v0
	v_mov_b32_e32 v1, v3
	v_fmac_f32_e32 v3, 0xbe750f2a, v40
	v_mul_f32_e32 v8, 0x3eedf032, v41
	v_add_f32_e32 v33, v33, v37
	v_add_f32_e32 v37, v11, v9
	v_fmac_f32_e32 v0, 0xbf788fa5, v38
	v_add_f32_e32 v2, v2, v15
	v_add_f32_e32 v3, v3, v16
	v_fma_f32 v10, v38, s7, -v8
	v_mul_f32_e32 v11, 0x3f62ad3f, v39
	v_mul_f32_e32 v12, 0xbf29c268, v41
	v_mul_f32_e32 v15, 0xbf3f9e67, v39
	v_mul_f32_e32 v16, 0x3f52af12, v41
	v_add_f32_e32 v0, v0, v14
	v_fmac_f32_e32 v1, 0x3e750f2a, v40
	v_mov_b32_e32 v9, v11
	v_add_f32_e32 v10, v10, v18
	v_fma_f32 v14, v38, s12, -v12
	v_mov_b32_e32 v13, v15
	v_fma_f32 v18, v38, s6, -v16
	v_fmac_f32_e32 v16, 0x3f116cb1, v38
	v_add_f32_e32 v1, v1, v19
	v_fmac_f32_e32 v8, 0x3f62ad3f, v38
	v_fmac_f32_e32 v9, 0xbeedf032, v40
	;; [unrolled: 1-line block ×4, first 2 shown]
	v_add_f32_e32 v14, v14, v23
	v_fmac_f32_e32 v15, 0xbf29c268, v40
	v_add_f32_e32 v16, v16, v26
	v_mul_f32_e32 v19, 0x3f116cb1, v39
	v_add_f32_e32 v18, v18, v27
	v_mul_f32_e32 v23, 0xbeb58ec6, v39
	v_mul_f32_e32 v26, 0x3f7e222b, v41
	;; [unrolled: 1-line block ×3, first 2 shown]
	v_add_f32_e32 v8, v8, v17
	v_add_f32_e32 v9, v9, v21
	;; [unrolled: 1-line block ×3, first 2 shown]
	v_fmac_f32_e32 v12, 0xbf3f9e67, v38
	v_add_f32_e32 v13, v13, v25
	v_add_f32_e32 v15, v15, v24
	v_mov_b32_e32 v17, v19
	v_mul_f32_e32 v20, 0xbf6f5d39, v41
	v_mov_b32_e32 v21, v23
	v_mov_b32_e32 v24, v26
	;; [unrolled: 1-line block ×3, first 2 shown]
	v_add_f32_e32 v12, v12, v22
	v_fmac_f32_e32 v17, 0xbf52af12, v40
	v_fmac_f32_e32 v19, 0x3f52af12, v40
	v_fma_f32 v22, v38, s9, -v20
	v_fmac_f32_e32 v20, 0xbeb58ec6, v38
	v_fmac_f32_e32 v21, 0x3f6f5d39, v40
	;; [unrolled: 1-line block ×5, first 2 shown]
	v_fma_f32 v26, v38, s8, -v26
	v_fmac_f32_e32 v27, 0x3f7e222b, v40
	v_add_f32_e32 v17, v17, v29
	v_add_f32_e32 v19, v19, v28
	;; [unrolled: 1-line block ×10, first 2 shown]
	ds_write2_b64 v75, v[4:5], v[0:1] offset1:169
	ds_write2_b64 v81, v[8:9], v[12:13] offset0:82 offset1:251
	ds_write2_b64 v80, v[16:17], v[20:21] offset0:36 offset1:205
	;; [unrolled: 1-line block ×5, first 2 shown]
	ds_write_b64 v75, v[2:3] offset:16224
	s_waitcnt lgkmcnt(0)
	s_barrier
	ds_read2_b64 v[0:3], v75 offset1:169
	v_mad_u64_u32 v[6:7], s[10:11], s2, v56, 0
	s_load_dwordx2 s[6:7], s[4:5], 0x38
	s_mov_b32 s4, 0xaab49c24
	s_waitcnt lgkmcnt(0)
	v_mul_f32_e32 v5, v74, v1
	v_fmac_f32_e32 v5, v73, v0
	v_mul_f32_e32 v0, v74, v0
	v_fma_f32 v0, v73, v1, -v0
	v_cvt_f64_f32_e32 v[0:1], v0
	s_mov_b32 s5, 0x3f3dd46b
	v_mov_b32_e32 v4, v7
	v_cvt_f64_f32_e32 v[7:8], v5
	v_mul_f64 v[0:1], v[0:1], s[4:5]
	v_mad_u64_u32 v[10:11], s[8:9], s0, v76, 0
	v_mad_u64_u32 v[4:5], s[2:3], s3, v56, v[4:5]
	v_mul_f64 v[8:9], v[7:8], s[4:5]
	v_mov_b32_e32 v5, v11
	v_mov_b32_e32 v7, v4
	v_mad_u64_u32 v[11:12], s[2:3], s1, v76, v[5:6]
	v_cvt_f32_f64_e32 v5, v[0:1]
	v_lshlrev_b64 v[0:1], 3, v[6:7]
	v_mul_f32_e32 v6, v72, v3
	v_fmac_f32_e32 v6, v71, v2
	v_cvt_f64_f32_e32 v[6:7], v6
	v_mul_f32_e32 v2, v72, v2
	v_fma_f32 v2, v71, v3, -v2
	v_cvt_f32_f64_e32 v4, v[8:9]
	v_mov_b32_e32 v8, s7
	v_cvt_f64_f32_e32 v[2:3], v2
	v_add_co_u32_e32 v12, vcc, s6, v0
	v_addc_co_u32_e32 v13, vcc, v8, v1, vcc
	v_lshlrev_b64 v[0:1], 3, v[10:11]
	v_mul_f64 v[6:7], v[6:7], s[4:5]
	v_add_co_u32_e32 v10, vcc, v12, v0
	v_mul_f64 v[8:9], v[2:3], s[4:5]
	v_addc_co_u32_e32 v11, vcc, v13, v1, vcc
	ds_read2_b64 v[0:3], v81 offset0:82 offset1:251
	global_store_dwordx2 v[10:11], v[4:5], off
	v_cvt_f32_f64_e32 v4, v[6:7]
	s_mulk_i32 s1, 0x548
	s_mul_hi_u32 s2, s0, 0x548
	s_waitcnt lgkmcnt(0)
	v_mul_f32_e32 v6, v68, v1
	v_fmac_f32_e32 v6, v67, v0
	v_mul_f32_e32 v0, v68, v0
	v_fma_f32 v0, v67, v1, -v0
	v_cvt_f64_f32_e32 v[0:1], v0
	v_cvt_f64_f32_e32 v[6:7], v6
	v_cvt_f32_f64_e32 v5, v[8:9]
	s_add_i32 s1, s2, s1
	v_mul_f64 v[0:1], v[0:1], s[4:5]
	v_mul_f64 v[6:7], v[6:7], s[4:5]
	s_mulk_i32 s0, 0x548
	v_mov_b32_e32 v9, s1
	v_add_co_u32_e32 v8, vcc, s0, v10
	v_addc_co_u32_e32 v9, vcc, v11, v9, vcc
	global_store_dwordx2 v[8:9], v[4:5], off
	v_cvt_f32_f64_e32 v5, v[0:1]
	v_mul_f32_e32 v0, v62, v3
	v_fmac_f32_e32 v0, v61, v2
	v_cvt_f32_f64_e32 v4, v[6:7]
	v_cvt_f64_f32_e32 v[6:7], v0
	v_mul_f32_e32 v0, v62, v2
	v_fma_f32 v0, v61, v3, -v0
	v_cvt_f64_f32_e32 v[10:11], v0
	ds_read2_b64 v[0:3], v80 offset0:36 offset1:205
	v_mov_b32_e32 v12, s1
	v_add_co_u32_e32 v8, vcc, s0, v8
	v_addc_co_u32_e32 v9, vcc, v9, v12, vcc
	global_store_dwordx2 v[8:9], v[4:5], off
	v_mul_f64 v[4:5], v[6:7], s[4:5]
	v_mul_f64 v[6:7], v[10:11], s[4:5]
	s_waitcnt lgkmcnt(0)
	v_mul_f32_e32 v10, v70, v1
	v_fmac_f32_e32 v10, v69, v0
	v_mul_f32_e32 v0, v70, v0
	v_fma_f32 v0, v69, v1, -v0
	v_cvt_f64_f32_e32 v[0:1], v0
	v_cvt_f64_f32_e32 v[10:11], v10
	v_cvt_f32_f64_e32 v4, v[4:5]
	v_cvt_f32_f64_e32 v5, v[6:7]
	v_mul_f64 v[0:1], v[0:1], s[4:5]
	v_mul_f64 v[6:7], v[10:11], s[4:5]
	v_mov_b32_e32 v10, s1
	v_add_co_u32_e32 v8, vcc, s0, v8
	v_addc_co_u32_e32 v9, vcc, v9, v10, vcc
	global_store_dwordx2 v[8:9], v[4:5], off
	v_cvt_f32_f64_e32 v5, v[0:1]
	v_mul_f32_e32 v0, v64, v3
	v_fmac_f32_e32 v0, v63, v2
	v_cvt_f32_f64_e32 v4, v[6:7]
	v_cvt_f64_f32_e32 v[6:7], v0
	v_mul_f32_e32 v0, v64, v2
	v_fma_f32 v0, v63, v3, -v0
	v_cvt_f64_f32_e32 v[10:11], v0
	ds_read2_b64 v[0:3], v79 offset0:54 offset1:223
	v_add_co_u32_e32 v8, vcc, s0, v8
	v_addc_co_u32_e32 v9, vcc, v9, v12, vcc
	global_store_dwordx2 v[8:9], v[4:5], off
	v_mul_f64 v[4:5], v[6:7], s[4:5]
	v_mul_f64 v[6:7], v[10:11], s[4:5]
	s_waitcnt lgkmcnt(0)
	v_mul_f32_e32 v10, v58, v1
	v_fmac_f32_e32 v10, v57, v0
	v_mul_f32_e32 v0, v58, v0
	v_fma_f32 v0, v57, v1, -v0
	v_cvt_f64_f32_e32 v[0:1], v0
	v_cvt_f64_f32_e32 v[10:11], v10
	v_cvt_f32_f64_e32 v4, v[4:5]
	v_cvt_f32_f64_e32 v5, v[6:7]
	v_mul_f64 v[0:1], v[0:1], s[4:5]
	v_mul_f64 v[6:7], v[10:11], s[4:5]
	v_mov_b32_e32 v10, s1
	v_add_co_u32_e32 v8, vcc, s0, v8
	v_addc_co_u32_e32 v9, vcc, v9, v10, vcc
	global_store_dwordx2 v[8:9], v[4:5], off
	v_cvt_f32_f64_e32 v5, v[0:1]
	v_mul_f32_e32 v0, v66, v3
	v_fmac_f32_e32 v0, v65, v2
	v_cvt_f32_f64_e32 v4, v[6:7]
	v_cvt_f64_f32_e32 v[6:7], v0
	v_mul_f32_e32 v0, v66, v2
	v_fma_f32 v0, v65, v3, -v0
	v_cvt_f64_f32_e32 v[10:11], v0
	ds_read2_b64 v[0:3], v78 offset0:72 offset1:241
	;; [unrolled: 29-line block ×3, first 2 shown]
	v_add_co_u32_e32 v8, vcc, s0, v8
	v_addc_co_u32_e32 v9, vcc, v9, v12, vcc
	global_store_dwordx2 v[8:9], v[4:5], off
	v_mul_f64 v[4:5], v[6:7], s[4:5]
	v_mul_f64 v[6:7], v[10:11], s[4:5]
	s_waitcnt lgkmcnt(0)
	v_mul_f32_e32 v10, v53, v1
	v_fmac_f32_e32 v10, v52, v0
	v_mul_f32_e32 v0, v53, v0
	v_fma_f32 v0, v52, v1, -v0
	v_cvt_f64_f32_e32 v[0:1], v0
	v_cvt_f64_f32_e32 v[10:11], v10
	v_cvt_f32_f64_e32 v4, v[4:5]
	v_cvt_f32_f64_e32 v5, v[6:7]
	v_mul_f64 v[0:1], v[0:1], s[4:5]
	v_mul_f64 v[6:7], v[10:11], s[4:5]
	v_mov_b32_e32 v10, s1
	v_add_co_u32_e32 v8, vcc, s0, v8
	v_addc_co_u32_e32 v9, vcc, v9, v10, vcc
	global_store_dwordx2 v[8:9], v[4:5], off
	v_cvt_f32_f64_e32 v5, v[0:1]
	v_mul_f32_e32 v0, v51, v3
	v_fmac_f32_e32 v0, v50, v2
	v_mul_f32_e32 v2, v51, v2
	v_fma_f32 v2, v50, v3, -v2
	v_cvt_f32_f64_e32 v4, v[6:7]
	v_cvt_f64_f32_e32 v[0:1], v0
	v_cvt_f64_f32_e32 v[2:3], v2
	ds_read_b64 v[6:7], v75 offset:16224
	v_add_co_u32_e32 v8, vcc, s0, v8
	v_addc_co_u32_e32 v9, vcc, v9, v10, vcc
	v_mul_f64 v[0:1], v[0:1], s[4:5]
	v_mul_f64 v[2:3], v[2:3], s[4:5]
	global_store_dwordx2 v[8:9], v[4:5], off
	s_waitcnt lgkmcnt(0)
	v_mul_f32_e32 v4, v49, v7
	v_fmac_f32_e32 v4, v48, v6
	v_mul_f32_e32 v6, v49, v6
	v_fma_f32 v6, v48, v7, -v6
	v_cvt_f64_f32_e32 v[4:5], v4
	v_cvt_f64_f32_e32 v[6:7], v6
	v_cvt_f32_f64_e32 v0, v[0:1]
	v_cvt_f32_f64_e32 v1, v[2:3]
	v_mul_f64 v[2:3], v[4:5], s[4:5]
	v_mul_f64 v[4:5], v[6:7], s[4:5]
	v_mov_b32_e32 v7, s1
	v_add_co_u32_e32 v6, vcc, s0, v8
	v_addc_co_u32_e32 v7, vcc, v9, v7, vcc
	global_store_dwordx2 v[6:7], v[0:1], off
	v_cvt_f32_f64_e32 v0, v[2:3]
	v_cvt_f32_f64_e32 v1, v[4:5]
	v_mov_b32_e32 v3, s1
	v_add_co_u32_e32 v2, vcc, s0, v6
	v_addc_co_u32_e32 v3, vcc, v7, v3, vcc
	global_store_dwordx2 v[2:3], v[0:1], off
.LBB0_2:
	s_endpgm
	.section	.rodata,"a",@progbits
	.p2align	6, 0x0
	.amdhsa_kernel bluestein_single_back_len2197_dim1_sp_op_CI_CI
		.amdhsa_group_segment_fixed_size 17576
		.amdhsa_private_segment_fixed_size 0
		.amdhsa_kernarg_size 104
		.amdhsa_user_sgpr_count 6
		.amdhsa_user_sgpr_private_segment_buffer 1
		.amdhsa_user_sgpr_dispatch_ptr 0
		.amdhsa_user_sgpr_queue_ptr 0
		.amdhsa_user_sgpr_kernarg_segment_ptr 1
		.amdhsa_user_sgpr_dispatch_id 0
		.amdhsa_user_sgpr_flat_scratch_init 0
		.amdhsa_user_sgpr_private_segment_size 0
		.amdhsa_uses_dynamic_stack 0
		.amdhsa_system_sgpr_private_segment_wavefront_offset 0
		.amdhsa_system_sgpr_workgroup_id_x 1
		.amdhsa_system_sgpr_workgroup_id_y 0
		.amdhsa_system_sgpr_workgroup_id_z 0
		.amdhsa_system_sgpr_workgroup_info 0
		.amdhsa_system_vgpr_workitem_id 0
		.amdhsa_next_free_vgpr 175
		.amdhsa_next_free_sgpr 20
		.amdhsa_reserve_vcc 1
		.amdhsa_reserve_flat_scratch 0
		.amdhsa_float_round_mode_32 0
		.amdhsa_float_round_mode_16_64 0
		.amdhsa_float_denorm_mode_32 3
		.amdhsa_float_denorm_mode_16_64 3
		.amdhsa_dx10_clamp 1
		.amdhsa_ieee_mode 1
		.amdhsa_fp16_overflow 0
		.amdhsa_exception_fp_ieee_invalid_op 0
		.amdhsa_exception_fp_denorm_src 0
		.amdhsa_exception_fp_ieee_div_zero 0
		.amdhsa_exception_fp_ieee_overflow 0
		.amdhsa_exception_fp_ieee_underflow 0
		.amdhsa_exception_fp_ieee_inexact 0
		.amdhsa_exception_int_div_zero 0
	.end_amdhsa_kernel
	.text
.Lfunc_end0:
	.size	bluestein_single_back_len2197_dim1_sp_op_CI_CI, .Lfunc_end0-bluestein_single_back_len2197_dim1_sp_op_CI_CI
                                        ; -- End function
	.section	.AMDGPU.csdata,"",@progbits
; Kernel info:
; codeLenInByte = 20436
; NumSgprs: 24
; NumVgprs: 175
; ScratchSize: 0
; MemoryBound: 0
; FloatMode: 240
; IeeeMode: 1
; LDSByteSize: 17576 bytes/workgroup (compile time only)
; SGPRBlocks: 2
; VGPRBlocks: 43
; NumSGPRsForWavesPerEU: 24
; NumVGPRsForWavesPerEU: 175
; Occupancy: 1
; WaveLimiterHint : 1
; COMPUTE_PGM_RSRC2:SCRATCH_EN: 0
; COMPUTE_PGM_RSRC2:USER_SGPR: 6
; COMPUTE_PGM_RSRC2:TRAP_HANDLER: 0
; COMPUTE_PGM_RSRC2:TGID_X_EN: 1
; COMPUTE_PGM_RSRC2:TGID_Y_EN: 0
; COMPUTE_PGM_RSRC2:TGID_Z_EN: 0
; COMPUTE_PGM_RSRC2:TIDIG_COMP_CNT: 0
	.type	__hip_cuid_29c5cfdc3d4c3812,@object ; @__hip_cuid_29c5cfdc3d4c3812
	.section	.bss,"aw",@nobits
	.globl	__hip_cuid_29c5cfdc3d4c3812
__hip_cuid_29c5cfdc3d4c3812:
	.byte	0                               ; 0x0
	.size	__hip_cuid_29c5cfdc3d4c3812, 1

	.ident	"AMD clang version 19.0.0git (https://github.com/RadeonOpenCompute/llvm-project roc-6.4.0 25133 c7fe45cf4b819c5991fe208aaa96edf142730f1d)"
	.section	".note.GNU-stack","",@progbits
	.addrsig
	.addrsig_sym __hip_cuid_29c5cfdc3d4c3812
	.amdgpu_metadata
---
amdhsa.kernels:
  - .args:
      - .actual_access:  read_only
        .address_space:  global
        .offset:         0
        .size:           8
        .value_kind:     global_buffer
      - .actual_access:  read_only
        .address_space:  global
        .offset:         8
        .size:           8
        .value_kind:     global_buffer
      - .actual_access:  read_only
        .address_space:  global
        .offset:         16
        .size:           8
        .value_kind:     global_buffer
      - .actual_access:  read_only
        .address_space:  global
        .offset:         24
        .size:           8
        .value_kind:     global_buffer
      - .actual_access:  read_only
        .address_space:  global
        .offset:         32
        .size:           8
        .value_kind:     global_buffer
      - .offset:         40
        .size:           8
        .value_kind:     by_value
      - .address_space:  global
        .offset:         48
        .size:           8
        .value_kind:     global_buffer
      - .address_space:  global
        .offset:         56
        .size:           8
        .value_kind:     global_buffer
      - .address_space:  global
        .offset:         64
        .size:           8
        .value_kind:     global_buffer
      - .address_space:  global
        .offset:         72
        .size:           8
        .value_kind:     global_buffer
      - .offset:         80
        .size:           4
        .value_kind:     by_value
      - .address_space:  global
        .offset:         88
        .size:           8
        .value_kind:     global_buffer
      - .address_space:  global
        .offset:         96
        .size:           8
        .value_kind:     global_buffer
    .group_segment_fixed_size: 17576
    .kernarg_segment_align: 8
    .kernarg_segment_size: 104
    .language:       OpenCL C
    .language_version:
      - 2
      - 0
    .max_flat_workgroup_size: 169
    .name:           bluestein_single_back_len2197_dim1_sp_op_CI_CI
    .private_segment_fixed_size: 0
    .sgpr_count:     24
    .sgpr_spill_count: 0
    .symbol:         bluestein_single_back_len2197_dim1_sp_op_CI_CI.kd
    .uniform_work_group_size: 1
    .uses_dynamic_stack: false
    .vgpr_count:     175
    .vgpr_spill_count: 0
    .wavefront_size: 64
amdhsa.target:   amdgcn-amd-amdhsa--gfx906
amdhsa.version:
  - 1
  - 2
...

	.end_amdgpu_metadata
